;; amdgpu-corpus repo=ROCm/rocBLAS kind=compiled arch=gfx950 opt=O3
	.amdgcn_target "amdgcn-amd-amdhsa--gfx950"
	.amdhsa_code_object_version 6
	.section	.text._ZL18rocblas_her_kernelILi1024EPKfPK19rocblas_complex_numIfEPS3_EvbiT0_T1_lllT2_llli,"axG",@progbits,_ZL18rocblas_her_kernelILi1024EPKfPK19rocblas_complex_numIfEPS3_EvbiT0_T1_lllT2_llli,comdat
	.globl	_ZL18rocblas_her_kernelILi1024EPKfPK19rocblas_complex_numIfEPS3_EvbiT0_T1_lllT2_llli ; -- Begin function _ZL18rocblas_her_kernelILi1024EPKfPK19rocblas_complex_numIfEPS3_EvbiT0_T1_lllT2_llli
	.p2align	8
	.type	_ZL18rocblas_her_kernelILi1024EPKfPK19rocblas_complex_numIfEPS3_EvbiT0_T1_lllT2_llli,@function
_ZL18rocblas_her_kernelILi1024EPKfPK19rocblas_complex_numIfEPS3_EvbiT0_T1_lllT2_llli: ; @_ZL18rocblas_her_kernelILi1024EPKfPK19rocblas_complex_numIfEPS3_EvbiT0_T1_lllT2_llli
; %bb.0:
	s_load_dwordx16 s[4:19], s[0:1], 0x8
	s_waitcnt lgkmcnt(0)
	s_load_dword s24, s[4:5], 0x0
	s_waitcnt lgkmcnt(0)
	v_cmp_eq_f32_e64 s[4:5], s24, 0
	s_and_b64 vcc, exec, s[4:5]
	s_cbranch_vccnz .LBB0_32
; %bb.1:
	s_load_dwordx2 s[22:23], s[0:1], 0x0
	s_load_dwordx2 s[4:5], s[0:1], 0x48
	v_mov_b32_e32 v9, 0
	s_waitcnt lgkmcnt(0)
	s_and_b32 s22, s22, 1
	s_mul_i32 s1, s5, s3
	s_mul_hi_u32 s5, s4, s3
	s_mul_i32 s0, s4, s3
	s_add_i32 s1, s5, s1
	s_lshl_b64 s[20:21], s[0:1], 3
	s_add_u32 s0, s14, s20
	s_addc_u32 s1, s15, s21
	s_lshl_b64 s[18:19], s[18:19], 3
	s_add_u32 s26, s0, s18
	s_addc_u32 s27, s1, s19
	s_mul_i32 s0, s13, s3
	s_mul_hi_u32 s1, s12, s3
	s_add_i32 s1, s1, s0
	s_mul_i32 s0, s12, s3
	s_lshl_b64 s[0:1], s[0:1], 3
	s_add_u32 s3, s6, s0
	s_addc_u32 s5, s7, s1
	s_lshl_b64 s[0:1], s[8:9], 3
	s_add_u32 s4, s3, s0
	s_addc_u32 s5, s5, s1
	s_ashr_i32 s3, s2, 31
	s_mul_hi_u32 s0, s16, s2
	s_mul_i32 s1, s16, s3
	s_add_i32 s0, s0, s1
	s_mul_i32 s1, s17, s2
	s_add_i32 s7, s0, s1
	s_mul_hi_u32 s0, s10, s2
	s_mul_i32 s1, s10, s3
	s_add_i32 s0, s0, s1
	s_mul_i32 s1, s11, s2
	s_add_i32 s1, s0, s1
	s_mul_i32 s0, s10, s2
	s_lshl_b64 s[0:1], s[0:1], 3
	s_add_u32 s0, s4, s0
	s_addc_u32 s1, s5, s1
	s_load_dwordx2 s[8:9], s[0:1], 0x0
	v_cmp_gt_i32_e32 vcc, s23, v0
	s_mul_i32 s6, s16, s2
	s_cmp_eq_u32 s22, 0
	v_cndmask_b32_e32 v1, 0, v0, vcc
	v_lshlrev_b32_e32 v8, 3, v1
	v_lshl_add_u64 v[2:3], s[26:27], 0, v[8:9]
	v_lshl_add_u64 v[4:5], s[6:7], 3, v[2:3]
	s_waitcnt lgkmcnt(0)
	v_mul_f32_e64 v2, s9, 0
	v_mov_b32_e32 v1, s8
	v_fmac_f32_e32 v2, s24, v1
	v_mov_b32_e32 v1, s9
	v_mul_f32_e32 v1, s24, v1
	v_fma_f32 v6, s8, 0, -v1
	s_mov_b64 s[8:9], -1
	s_cbranch_scc0 .LBB0_17
; %bb.2:
	v_cmp_eq_u32_e32 vcc, 0, v0
	s_and_saveexec_b64 s[8:9], vcc
	s_cbranch_execz .LBB0_4
; %bb.3:
	v_lshl_add_u64 v[10:11], s[2:3], 3, v[4:5]
	global_load_dword v1, v[10:11], off
	s_load_dwordx2 s[12:13], s[0:1], 0x0
	v_mov_b32_e32 v13, 0
	s_waitcnt lgkmcnt(0)
	v_mul_f32_e32 v3, s13, v6
	v_fma_f32 v3, v2, s12, -v3
	s_waitcnt vmcnt(0)
	v_add_f32_e32 v12, v1, v3
	global_store_dwordx2 v[10:11], v[12:13], off
.LBB0_4:
	s_or_b64 exec, exec, s[8:9]
	s_add_i32 s24, s2, 1
	v_add_u32_e32 v10, s24, v0
	v_cmp_gt_i32_e32 vcc, s23, v10
	s_and_saveexec_b64 s[8:9], vcc
	s_cbranch_execz .LBB0_16
; %bb.5:
	v_add_u32_e32 v1, s2, v0
	v_add_u32_e32 v3, 0x401, v1
	v_max_i32_e32 v3, s23, v3
	v_sub_u32_e32 v1, v3, v1
	v_add_u32_e32 v1, -2, v1
	s_movk_i32 s3, 0x1c00
	v_cmp_gt_u32_e64 s[12:13], s3, v1
	s_movk_i32 s3, 0x1bff
	v_cmp_lt_u32_e32 vcc, s3, v1
	v_mov_b32_e32 v12, s24
	v_mov_b32_e32 v11, v10
	s_and_saveexec_b64 s[16:17], vcc
	s_cbranch_execz .LBB0_13
; %bb.6:
	v_and_b32_e32 v3, 0xfffffc00, v1
	v_add_u32_e32 v3, v10, v3
	v_cmp_ge_i32_e32 vcc, v3, v10
	s_mov_b64 s[28:29], -1
	v_mov_b32_e32 v12, s24
	v_mov_b32_e32 v11, v10
	s_and_saveexec_b64 s[26:27], vcc
	s_cbranch_execz .LBB0_12
; %bb.7:
	v_lshrrev_b32_e32 v1, 10, v1
	v_add_u32_e32 v9, 1, v1
	v_and_b32_e32 v1, 0x7ffffe, v9
	v_add_u32_e32 v11, 0x400, v10
	s_add_i32 s25, s24, 0x400
	s_mov_b32 s3, s10
	s_mov_b32 s22, s11
	v_mov_b32_e32 v3, v2
	v_mov_b32_e32 v7, v6
	s_mov_b64 s[28:29], 0
	v_mov_b32_e32 v14, v1
	v_mov_b64_e32 v[12:13], v[10:11]
	s_mov_b64 s[30:31], s[24:25]
.LBB0_8:                                ; =>This Inner Loop Header: Depth=1
	v_ashrrev_i32_e32 v11, 31, v12
	v_ashrrev_i32_e32 v15, 31, v13
	v_mul_lo_u32 v25, s22, v12
	v_mad_u64_u32 v[18:19], s[34:35], s3, v12, 0
	v_mul_lo_u32 v11, s3, v11
	v_mul_lo_u32 v24, s11, v13
	v_mad_u64_u32 v[16:17], s[34:35], s10, v13, 0
	s_ashr_i32 s37, s30, 31
	s_mov_b32 s36, s30
	v_mul_lo_u32 v15, s10, v15
	v_add3_u32 v19, v19, v11, v25
	s_ashr_i32 s35, s31, 31
	s_mov_b32 s34, s31
	v_lshl_add_u64 v[20:21], s[36:37], 3, v[4:5]
	v_add3_u32 v17, v17, v15, v24
	v_lshl_add_u64 v[18:19], v[18:19], 3, s[4:5]
	v_lshl_add_u64 v[22:23], s[34:35], 3, v[4:5]
	global_load_dwordx2 v[24:25], v[20:21], off
	v_lshl_add_u64 v[16:17], v[16:17], 3, s[4:5]
	global_load_dwordx2 v[26:27], v[18:19], off
	global_load_dwordx2 v[28:29], v[16:17], off
	;; [unrolled: 1-line block ×3, first 2 shown]
	v_add_u32_e32 v14, -2, v14
	s_addk_i32 s31, 0x800
	s_addk_i32 s30, 0x800
	v_cmp_eq_u32_e32 vcc, 0, v14
	v_add_u32_e32 v13, 0x800, v13
	v_add_u32_e32 v12, 0x800, v12
	s_or_b64 s[28:29], vcc, s[28:29]
	s_waitcnt vmcnt(3)
	v_mov_b32_e32 v16, v24
	s_waitcnt vmcnt(1)
	v_mov_b32_e32 v19, v28
	v_mov_b32_e32 v28, v27
	s_waitcnt vmcnt(0)
	v_mov_b32_e32 v17, v30
	v_mov_b32_e32 v30, v25
	;; [unrolled: 1-line block ×3, first 2 shown]
	v_pk_mul_f32 v[24:25], v[6:7], v[28:29]
	v_pk_mul_f32 v[26:27], v[2:3], v[28:29]
	v_pk_fma_f32 v[24:25], v[2:3], v[18:19], v[24:25] neg_lo:[0,0,1] neg_hi:[0,0,1]
	v_pk_fma_f32 v[18:19], v[6:7], v[18:19], v[26:27]
	v_pk_add_f32 v[16:17], v[16:17], v[24:25]
	v_pk_add_f32 v[18:19], v[18:19], v[30:31]
	v_mov_b32_e32 v24, v16
	v_mov_b32_e32 v25, v18
	;; [unrolled: 1-line block ×3, first 2 shown]
	global_store_dwordx2 v[20:21], v[24:25], off
	global_store_dwordx2 v[22:23], v[18:19], off
	s_andn2_b64 exec, exec, s[28:29]
	s_cbranch_execnz .LBB0_8
; %bb.9:
	s_or_b64 exec, exec, s[28:29]
	v_cmp_ne_u32_e32 vcc, v9, v1
	s_mov_b64 s[28:29], 0
                                        ; implicit-def: $vgpr12
                                        ; implicit-def: $vgpr11
	s_and_saveexec_b64 s[30:31], vcc
; %bb.10:
	v_lshlrev_b32_e32 v1, 10, v1
	v_add_u32_e32 v12, s24, v1
	s_mov_b64 s[28:29], exec
	v_add_u32_e32 v10, v10, v1
	v_add_u32_e32 v11, v0, v12
; %bb.11:
	s_or_b64 exec, exec, s[30:31]
	s_orn2_b64 s[28:29], s[28:29], exec
.LBB0_12:
	s_or_b64 exec, exec, s[26:27]
	s_andn2_b64 s[12:13], s[12:13], exec
	s_and_b64 s[24:25], s[28:29], exec
	s_or_b64 s[12:13], s[12:13], s[24:25]
.LBB0_13:
	s_or_b64 exec, exec, s[16:17]
	s_and_b64 exec, exec, s[12:13]
	s_cbranch_execz .LBB0_16
; %bb.14:
	s_lshl_b64 s[12:13], s[6:7], 3
	s_add_u32 s3, s12, s20
	s_addc_u32 s13, s13, s21
	s_add_u32 s12, s3, s18
	s_addc_u32 s13, s13, s19
	v_ashrrev_i32_e32 v13, 31, v12
	v_lshl_add_u64 v[14:15], v[12:13], 3, s[12:13]
	v_mov_b32_e32 v9, 0
	v_lshl_add_u64 v[14:15], v[14:15], 0, v[8:9]
	v_mov_b32_e32 v7, v6
	v_mov_b32_e32 v3, v2
	v_lshl_add_u64 v[14:15], s[14:15], 0, v[14:15]
	s_mov_b64 s[12:13], 0
	s_mov_b64 s[16:17], 0x2000
.LBB0_15:                               ; =>This Inner Loop Header: Depth=1
	v_ashrrev_i32_e32 v1, 31, v10
	v_mul_lo_u32 v9, s11, v10
	v_mad_u64_u32 v[16:17], s[24:25], s10, v10, 0
	v_mul_lo_u32 v1, s10, v1
	v_add3_u32 v17, v17, v1, v9
	v_lshl_add_u64 v[16:17], v[16:17], 3, s[4:5]
	global_load_dwordx2 v[18:19], v[16:17], off
	global_load_dwordx2 v[20:21], v[14:15], off
	v_add_u32_e32 v11, 0x400, v11
	v_add_u32_e32 v12, 0x400, v12
	v_cmp_le_i32_e32 vcc, s23, v11
	v_add_u32_e32 v10, v12, v0
	s_or_b64 s[12:13], vcc, s[12:13]
	s_waitcnt vmcnt(1)
	v_pk_mul_f32 v[16:17], v[6:7], v[18:19] op_sel:[0,1] op_sel_hi:[1,0]
	s_nop 0
	v_pk_fma_f32 v[22:23], v[2:3], v[18:19], v[16:17] neg_lo:[0,0,1] neg_hi:[0,0,1]
	v_pk_fma_f32 v[16:17], v[2:3], v[18:19], v[16:17]
	s_nop 0
	v_mov_b32_e32 v23, v17
	s_waitcnt vmcnt(0)
	v_pk_add_f32 v[16:17], v[20:21], v[22:23]
	global_store_dwordx2 v[14:15], v[16:17], off
	v_lshl_add_u64 v[14:15], v[14:15], 0, s[16:17]
	s_andn2_b64 exec, exec, s[12:13]
	s_cbranch_execnz .LBB0_15
.LBB0_16:
	s_or_b64 exec, exec, s[8:9]
	s_mov_b64 s[8:9], 0
.LBB0_17:
	s_and_b64 vcc, exec, s[8:9]
	s_cbranch_vccz .LBB0_32
; %bb.18:
	v_cmp_gt_i32_e32 vcc, s2, v0
	v_mov_b64_e32 v[12:13], 0
	v_mov_b32_e32 v1, v0
	s_and_saveexec_b64 s[8:9], vcc
	s_cbranch_execz .LBB0_30
; %bb.19:
	v_xad_u32 v3, v0, -1, s2
	s_movk_i32 s3, 0x3ff
	v_cmp_lt_u32_e32 vcc, s3, v3
	s_mov_b64 s[16:17], 0
                                        ; implicit-def: $vgpr1
                                        ; implicit-def: $vgpr12
	s_and_saveexec_b64 s[12:13], vcc
	s_xor_b64 s[12:13], exec, s[12:13]
	s_cbranch_execnz .LBB0_22
; %bb.20:
	s_or_saveexec_b64 s[12:13], s[12:13]
	v_mov_b32_e32 v10, v12
	s_xor_b64 exec, exec, s[12:13]
	s_cbranch_execnz .LBB0_25
.LBB0_21:
	s_or_b64 exec, exec, s[12:13]
	s_and_saveexec_b64 s[12:13], s[16:17]
	s_cbranch_execnz .LBB0_26
	s_branch .LBB0_29
.LBB0_22:
	v_lshrrev_b32_e32 v1, 10, v3
	v_add_u32_e32 v9, 1, v1
	v_and_b32_e32 v10, 0x7ffffe, v9
	s_mov_b32 s23, 0
	v_mov_b32_e32 v1, v0
	s_mov_b32 s3, s10
	s_mov_b32 s26, s11
	v_mov_b32_e32 v3, v2
	v_mov_b32_e32 v7, v6
	s_movk_i32 s24, 0x400
	v_mov_b32_e32 v11, v10
	s_mov_b32 s22, s23
.LBB0_23:                               ; =>This Inner Loop Header: Depth=1
	v_or_b32_e32 v25, s22, v0
	v_or_b32_e32 v23, s24, v1
	v_mad_u64_u32 v[16:17], s[28:29], s3, v25, 0
	v_mad_u64_u32 v[12:13], s[28:29], s10, v23, 0
	v_mov_b32_e32 v24, v17
	v_mov_b32_e32 v22, v13
	v_mad_u64_u32 v[24:25], s[28:29], s26, v25, v[24:25]
	v_mad_u64_u32 v[22:23], s[28:29], s11, v23, v[22:23]
	v_mov_b32_e32 v17, v24
	v_lshl_add_u64 v[14:15], s[22:23], 3, v[4:5]
	s_mov_b32 s25, s23
	v_mov_b32_e32 v13, v22
	v_lshl_add_u64 v[16:17], v[16:17], 3, s[4:5]
	v_lshl_add_u64 v[18:19], s[24:25], 3, v[4:5]
	global_load_dwordx2 v[20:21], v[14:15], off
	v_lshl_add_u64 v[12:13], v[12:13], 3, s[4:5]
	global_load_dwordx2 v[22:23], v[16:17], off
	global_load_dwordx2 v[24:25], v[12:13], off
	;; [unrolled: 1-line block ×3, first 2 shown]
	v_add_u32_e32 v11, -2, v11
	s_addk_i32 s22, 0x800
	s_add_i32 s25, s24, 0x800
	v_cmp_eq_u32_e32 vcc, 0, v11
	v_mov_b32_e32 v13, s24
	s_mov_b32 s24, s25
	s_or_b64 s[16:17], vcc, s[16:17]
	s_waitcnt vmcnt(3)
	v_mov_b32_e32 v16, v20
	s_waitcnt vmcnt(2)
	v_mov_b32_e32 v20, v22
	;; [unrolled: 2-line block ×3, first 2 shown]
	v_mov_b32_e32 v26, v21
	v_mov_b32_e32 v21, v24
	;; [unrolled: 1-line block ×3, first 2 shown]
	v_pk_mul_f32 v[22:23], v[6:7], v[24:25]
	v_pk_mul_f32 v[24:25], v[2:3], v[24:25]
	v_pk_fma_f32 v[22:23], v[2:3], v[20:21], v[22:23] neg_lo:[0,0,1] neg_hi:[0,0,1]
	v_pk_fma_f32 v[20:21], v[6:7], v[20:21], v[24:25]
	v_pk_add_f32 v[16:17], v[16:17], v[22:23]
	v_pk_add_f32 v[20:21], v[20:21], v[26:27]
	v_mov_b32_e32 v22, v16
	v_mov_b32_e32 v23, v20
	;; [unrolled: 1-line block ×3, first 2 shown]
	global_store_dwordx2 v[14:15], v[22:23], off
	global_store_dwordx2 v[18:19], v[20:21], off
	s_andn2_b64 exec, exec, s[16:17]
	s_cbranch_execnz .LBB0_23
; %bb.24:
	s_or_b64 exec, exec, s[16:17]
	s_movk_i32 s3, 0x400
	v_cmp_ne_u32_e32 vcc, v9, v10
	v_lshlrev_b32_e32 v12, 10, v10
	v_add3_u32 v1, v13, v0, s3
	s_and_b64 s[16:17], vcc, exec
	s_or_saveexec_b64 s[12:13], s[12:13]
	v_mov_b32_e32 v10, v12
	s_xor_b64 exec, exec, s[12:13]
	s_cbranch_execz .LBB0_21
.LBB0_25:
	v_mov_b32_e32 v10, 0
	s_or_b64 s[16:17], s[16:17], exec
	s_or_b64 exec, exec, s[12:13]
	s_and_saveexec_b64 s[12:13], s[16:17]
	s_cbranch_execz .LBB0_29
.LBB0_26:
	s_lshl_b64 s[6:7], s[6:7], 3
	s_add_u32 s3, s6, s20
	s_addc_u32 s7, s7, s21
	s_add_u32 s6, s3, s18
	s_addc_u32 s7, s7, s19
	v_mov_b32_e32 v9, 0
	v_lshl_add_u64 v[12:13], s[6:7], 0, v[8:9]
	v_mov_b32_e32 v11, v9
	v_lshl_add_u64 v[8:9], v[10:11], 3, v[12:13]
	v_mov_b32_e32 v7, v6
	v_mov_b32_e32 v3, v2
	v_lshl_add_u64 v[8:9], s[14:15], 0, v[8:9]
	s_mov_b64 s[6:7], 0
	s_mov_b64 s[14:15], 0x2000
.LBB0_27:                               ; =>This Inner Loop Header: Depth=1
	v_add_u32_e32 v1, v0, v10
	v_mad_u64_u32 v[12:13], s[16:17], s10, v1, 0
	v_mov_b32_e32 v14, v13
	v_mad_u64_u32 v[14:15], s[16:17], s11, v1, v[14:15]
	v_mov_b32_e32 v13, v14
	v_lshl_add_u64 v[12:13], v[12:13], 3, s[4:5]
	global_load_dwordx2 v[14:15], v[12:13], off
	global_load_dwordx2 v[16:17], v[8:9], off
	v_add_u32_e32 v10, 0x400, v10
	v_add_u32_e32 v1, v0, v10
	v_cmp_le_i32_e32 vcc, s2, v1
	s_or_b64 s[6:7], vcc, s[6:7]
	s_waitcnt vmcnt(1)
	v_pk_mul_f32 v[12:13], v[6:7], v[14:15] op_sel:[0,1] op_sel_hi:[1,0]
	s_nop 0
	v_pk_fma_f32 v[18:19], v[2:3], v[14:15], v[12:13] neg_lo:[0,0,1] neg_hi:[0,0,1]
	v_pk_fma_f32 v[12:13], v[2:3], v[14:15], v[12:13]
	s_nop 0
	v_mov_b32_e32 v19, v13
	s_waitcnt vmcnt(0)
	v_pk_add_f32 v[12:13], v[16:17], v[18:19]
	global_store_dwordx2 v[8:9], v[12:13], off
	v_lshl_add_u64 v[8:9], v[8:9], 0, s[14:15]
	s_andn2_b64 exec, exec, s[6:7]
	s_cbranch_execnz .LBB0_27
; %bb.28:
	s_or_b64 exec, exec, s[6:7]
	v_mov_b32_e32 v12, v10
.LBB0_29:
	s_or_b64 exec, exec, s[12:13]
	v_mov_b32_e32 v13, 0
.LBB0_30:
	s_or_b64 exec, exec, s[8:9]
	v_cmp_eq_u32_e32 vcc, s2, v1
	s_and_saveexec_b64 s[2:3], vcc
	s_cbranch_execz .LBB0_32
; %bb.31:
	v_lshl_add_u64 v[0:1], v[12:13], 3, v[4:5]
	global_load_dword v3, v[0:1], off
	s_load_dwordx2 s[2:3], s[0:1], 0x0
	s_waitcnt lgkmcnt(0)
	v_mul_f32_e32 v4, s3, v6
	v_fma_f32 v2, v2, s2, -v4
	s_waitcnt vmcnt(0)
	v_add_f32_e32 v2, v3, v2
	v_mov_b32_e32 v3, 0
	global_store_dwordx2 v[0:1], v[2:3], off
.LBB0_32:
	s_endpgm
	.section	.rodata,"a",@progbits
	.p2align	6, 0x0
	.amdhsa_kernel _ZL18rocblas_her_kernelILi1024EPKfPK19rocblas_complex_numIfEPS3_EvbiT0_T1_lllT2_llli
		.amdhsa_group_segment_fixed_size 0
		.amdhsa_private_segment_fixed_size 0
		.amdhsa_kernarg_size 84
		.amdhsa_user_sgpr_count 2
		.amdhsa_user_sgpr_dispatch_ptr 0
		.amdhsa_user_sgpr_queue_ptr 0
		.amdhsa_user_sgpr_kernarg_segment_ptr 1
		.amdhsa_user_sgpr_dispatch_id 0
		.amdhsa_user_sgpr_kernarg_preload_length 0
		.amdhsa_user_sgpr_kernarg_preload_offset 0
		.amdhsa_user_sgpr_private_segment_size 0
		.amdhsa_uses_dynamic_stack 0
		.amdhsa_enable_private_segment 0
		.amdhsa_system_sgpr_workgroup_id_x 1
		.amdhsa_system_sgpr_workgroup_id_y 0
		.amdhsa_system_sgpr_workgroup_id_z 1
		.amdhsa_system_sgpr_workgroup_info 0
		.amdhsa_system_vgpr_workitem_id 0
		.amdhsa_next_free_vgpr 32
		.amdhsa_next_free_sgpr 38
		.amdhsa_accum_offset 32
		.amdhsa_reserve_vcc 1
		.amdhsa_float_round_mode_32 0
		.amdhsa_float_round_mode_16_64 0
		.amdhsa_float_denorm_mode_32 3
		.amdhsa_float_denorm_mode_16_64 3
		.amdhsa_dx10_clamp 1
		.amdhsa_ieee_mode 1
		.amdhsa_fp16_overflow 0
		.amdhsa_tg_split 0
		.amdhsa_exception_fp_ieee_invalid_op 0
		.amdhsa_exception_fp_denorm_src 0
		.amdhsa_exception_fp_ieee_div_zero 0
		.amdhsa_exception_fp_ieee_overflow 0
		.amdhsa_exception_fp_ieee_underflow 0
		.amdhsa_exception_fp_ieee_inexact 0
		.amdhsa_exception_int_div_zero 0
	.end_amdhsa_kernel
	.section	.text._ZL18rocblas_her_kernelILi1024EPKfPK19rocblas_complex_numIfEPS3_EvbiT0_T1_lllT2_llli,"axG",@progbits,_ZL18rocblas_her_kernelILi1024EPKfPK19rocblas_complex_numIfEPS3_EvbiT0_T1_lllT2_llli,comdat
.Lfunc_end0:
	.size	_ZL18rocblas_her_kernelILi1024EPKfPK19rocblas_complex_numIfEPS3_EvbiT0_T1_lllT2_llli, .Lfunc_end0-_ZL18rocblas_her_kernelILi1024EPKfPK19rocblas_complex_numIfEPS3_EvbiT0_T1_lllT2_llli
                                        ; -- End function
	.set _ZL18rocblas_her_kernelILi1024EPKfPK19rocblas_complex_numIfEPS3_EvbiT0_T1_lllT2_llli.num_vgpr, 32
	.set _ZL18rocblas_her_kernelILi1024EPKfPK19rocblas_complex_numIfEPS3_EvbiT0_T1_lllT2_llli.num_agpr, 0
	.set _ZL18rocblas_her_kernelILi1024EPKfPK19rocblas_complex_numIfEPS3_EvbiT0_T1_lllT2_llli.numbered_sgpr, 38
	.set _ZL18rocblas_her_kernelILi1024EPKfPK19rocblas_complex_numIfEPS3_EvbiT0_T1_lllT2_llli.num_named_barrier, 0
	.set _ZL18rocblas_her_kernelILi1024EPKfPK19rocblas_complex_numIfEPS3_EvbiT0_T1_lllT2_llli.private_seg_size, 0
	.set _ZL18rocblas_her_kernelILi1024EPKfPK19rocblas_complex_numIfEPS3_EvbiT0_T1_lllT2_llli.uses_vcc, 1
	.set _ZL18rocblas_her_kernelILi1024EPKfPK19rocblas_complex_numIfEPS3_EvbiT0_T1_lllT2_llli.uses_flat_scratch, 0
	.set _ZL18rocblas_her_kernelILi1024EPKfPK19rocblas_complex_numIfEPS3_EvbiT0_T1_lllT2_llli.has_dyn_sized_stack, 0
	.set _ZL18rocblas_her_kernelILi1024EPKfPK19rocblas_complex_numIfEPS3_EvbiT0_T1_lllT2_llli.has_recursion, 0
	.set _ZL18rocblas_her_kernelILi1024EPKfPK19rocblas_complex_numIfEPS3_EvbiT0_T1_lllT2_llli.has_indirect_call, 0
	.section	.AMDGPU.csdata,"",@progbits
; Kernel info:
; codeLenInByte = 1976
; TotalNumSgprs: 44
; NumVgprs: 32
; NumAgprs: 0
; TotalNumVgprs: 32
; ScratchSize: 0
; MemoryBound: 0
; FloatMode: 240
; IeeeMode: 1
; LDSByteSize: 0 bytes/workgroup (compile time only)
; SGPRBlocks: 5
; VGPRBlocks: 3
; NumSGPRsForWavesPerEU: 44
; NumVGPRsForWavesPerEU: 32
; AccumOffset: 32
; Occupancy: 8
; WaveLimiterHint : 1
; COMPUTE_PGM_RSRC2:SCRATCH_EN: 0
; COMPUTE_PGM_RSRC2:USER_SGPR: 2
; COMPUTE_PGM_RSRC2:TRAP_HANDLER: 0
; COMPUTE_PGM_RSRC2:TGID_X_EN: 1
; COMPUTE_PGM_RSRC2:TGID_Y_EN: 0
; COMPUTE_PGM_RSRC2:TGID_Z_EN: 1
; COMPUTE_PGM_RSRC2:TIDIG_COMP_CNT: 0
; COMPUTE_PGM_RSRC3_GFX90A:ACCUM_OFFSET: 7
; COMPUTE_PGM_RSRC3_GFX90A:TG_SPLIT: 0
	.section	.text._ZL18rocblas_her_kernelILi1024EfPK19rocblas_complex_numIfEPS1_EvbiT0_T1_lllT2_llli,"axG",@progbits,_ZL18rocblas_her_kernelILi1024EfPK19rocblas_complex_numIfEPS1_EvbiT0_T1_lllT2_llli,comdat
	.globl	_ZL18rocblas_her_kernelILi1024EfPK19rocblas_complex_numIfEPS1_EvbiT0_T1_lllT2_llli ; -- Begin function _ZL18rocblas_her_kernelILi1024EfPK19rocblas_complex_numIfEPS1_EvbiT0_T1_lllT2_llli
	.p2align	8
	.type	_ZL18rocblas_her_kernelILi1024EfPK19rocblas_complex_numIfEPS1_EvbiT0_T1_lllT2_llli,@function
_ZL18rocblas_her_kernelILi1024EfPK19rocblas_complex_numIfEPS1_EvbiT0_T1_lllT2_llli: ; @_ZL18rocblas_her_kernelILi1024EfPK19rocblas_complex_numIfEPS1_EvbiT0_T1_lllT2_llli
; %bb.0:
	s_load_dwordx4 s[20:23], s[0:1], 0x0
	s_waitcnt lgkmcnt(0)
	v_cmp_eq_f32_e64 s[4:5], s22, 0
	s_and_b64 vcc, exec, s[4:5]
	s_cbranch_vccnz .LBB1_32
; %bb.1:
	s_load_dwordx16 s[4:19], s[0:1], 0x10
	s_and_b32 s20, s20, 1
	v_cmp_gt_i32_e32 vcc, s21, v0
	v_mov_b32_e32 v9, 0
	s_waitcnt lgkmcnt(0)
	s_mul_i32 s1, s19, s3
	s_mul_hi_u32 s19, s18, s3
	s_mul_i32 s0, s18, s3
	s_add_i32 s1, s19, s1
	s_lshl_b64 s[18:19], s[0:1], 3
	s_add_u32 s0, s12, s18
	s_addc_u32 s1, s13, s19
	s_lshl_b64 s[16:17], s[16:17], 3
	s_add_u32 s24, s0, s16
	s_addc_u32 s25, s1, s17
	s_mul_i32 s0, s11, s3
	s_mul_hi_u32 s1, s10, s3
	s_add_i32 s1, s1, s0
	s_mul_i32 s0, s10, s3
	s_lshl_b64 s[0:1], s[0:1], 3
	s_add_u32 s3, s4, s0
	s_addc_u32 s5, s5, s1
	s_lshl_b64 s[0:1], s[6:7], 3
	s_add_u32 s4, s3, s0
	s_addc_u32 s5, s5, s1
	s_ashr_i32 s3, s2, 31
	s_mul_hi_u32 s0, s14, s2
	s_mul_i32 s1, s14, s3
	s_add_i32 s0, s0, s1
	s_mul_i32 s1, s15, s2
	s_add_i32 s7, s0, s1
	s_mul_hi_u32 s0, s8, s2
	s_mul_i32 s1, s8, s3
	s_add_i32 s0, s0, s1
	s_mul_i32 s1, s9, s2
	s_add_i32 s1, s0, s1
	s_mul_i32 s0, s8, s2
	s_lshl_b64 s[0:1], s[0:1], 3
	s_add_u32 s0, s4, s0
	s_addc_u32 s1, s5, s1
	s_load_dwordx2 s[10:11], s[0:1], 0x0
	v_cndmask_b32_e32 v1, 0, v0, vcc
	v_lshlrev_b32_e32 v8, 3, v1
	v_lshl_add_u64 v[2:3], s[24:25], 0, v[8:9]
	s_mul_i32 s6, s14, s2
	v_lshl_add_u64 v[4:5], s[6:7], 3, v[2:3]
	s_waitcnt lgkmcnt(0)
	v_mul_f32_e64 v2, s11, 0
	v_mov_b32_e32 v1, s10
	v_fmac_f32_e32 v2, s22, v1
	v_mov_b32_e32 v1, s11
	v_mul_f32_e32 v1, s22, v1
	s_cmp_eq_u32 s20, 0
	v_fma_f32 v6, s10, 0, -v1
	s_mov_b64 s[10:11], -1
	s_cbranch_scc0 .LBB1_17
; %bb.2:
	v_cmp_eq_u32_e32 vcc, 0, v0
	s_and_saveexec_b64 s[10:11], vcc
	s_cbranch_execz .LBB1_4
; %bb.3:
	v_lshl_add_u64 v[10:11], s[2:3], 3, v[4:5]
	global_load_dword v1, v[10:11], off
	s_load_dwordx2 s[14:15], s[0:1], 0x0
	v_mov_b32_e32 v13, 0
	s_waitcnt lgkmcnt(0)
	v_mul_f32_e32 v3, s15, v6
	v_fma_f32 v3, v2, s14, -v3
	s_waitcnt vmcnt(0)
	v_add_f32_e32 v12, v1, v3
	global_store_dwordx2 v[10:11], v[12:13], off
.LBB1_4:
	s_or_b64 exec, exec, s[10:11]
	s_add_i32 s24, s2, 1
	v_add_u32_e32 v10, s24, v0
	v_cmp_gt_i32_e32 vcc, s21, v10
	s_and_saveexec_b64 s[10:11], vcc
	s_cbranch_execz .LBB1_16
; %bb.5:
	v_add_u32_e32 v1, s2, v0
	v_add_u32_e32 v3, 0x401, v1
	v_max_i32_e32 v3, s21, v3
	v_sub_u32_e32 v1, v3, v1
	v_add_u32_e32 v1, -2, v1
	s_movk_i32 s3, 0x1c00
	v_cmp_gt_u32_e64 s[14:15], s3, v1
	s_movk_i32 s3, 0x1bff
	v_cmp_lt_u32_e32 vcc, s3, v1
	v_mov_b32_e32 v12, s24
	v_mov_b32_e32 v11, v10
	s_and_saveexec_b64 s[22:23], vcc
	s_cbranch_execz .LBB1_13
; %bb.6:
	v_and_b32_e32 v3, 0xfffffc00, v1
	v_add_u32_e32 v3, v10, v3
	v_cmp_ge_i32_e32 vcc, v3, v10
	s_mov_b64 s[28:29], -1
	v_mov_b32_e32 v12, s24
	v_mov_b32_e32 v11, v10
	s_and_saveexec_b64 s[26:27], vcc
	s_cbranch_execz .LBB1_12
; %bb.7:
	v_lshrrev_b32_e32 v1, 10, v1
	v_add_u32_e32 v9, 1, v1
	v_and_b32_e32 v1, 0x7ffffe, v9
	v_add_u32_e32 v11, 0x400, v10
	s_add_i32 s25, s24, 0x400
	s_mov_b32 s3, s8
	s_mov_b32 s20, s9
	v_mov_b32_e32 v3, v2
	v_mov_b32_e32 v7, v6
	s_mov_b64 s[28:29], 0
	v_mov_b32_e32 v14, v1
	v_mov_b64_e32 v[12:13], v[10:11]
	s_mov_b64 s[30:31], s[24:25]
.LBB1_8:                                ; =>This Inner Loop Header: Depth=1
	v_ashrrev_i32_e32 v11, 31, v12
	v_ashrrev_i32_e32 v15, 31, v13
	v_mul_lo_u32 v25, s9, v12
	v_mad_u64_u32 v[18:19], s[34:35], s8, v12, 0
	v_mul_lo_u32 v11, s8, v11
	v_mul_lo_u32 v24, s20, v13
	v_mad_u64_u32 v[16:17], s[34:35], s3, v13, 0
	s_ashr_i32 s37, s30, 31
	s_mov_b32 s36, s30
	v_mul_lo_u32 v15, s3, v15
	v_add3_u32 v19, v19, v11, v25
	s_ashr_i32 s35, s31, 31
	s_mov_b32 s34, s31
	v_lshl_add_u64 v[20:21], s[36:37], 3, v[4:5]
	v_add3_u32 v17, v17, v15, v24
	v_lshl_add_u64 v[18:19], v[18:19], 3, s[4:5]
	v_lshl_add_u64 v[22:23], s[34:35], 3, v[4:5]
	global_load_dwordx2 v[24:25], v[20:21], off
	v_lshl_add_u64 v[16:17], v[16:17], 3, s[4:5]
	global_load_dwordx2 v[26:27], v[18:19], off
	global_load_dwordx2 v[28:29], v[16:17], off
	;; [unrolled: 1-line block ×3, first 2 shown]
	v_add_u32_e32 v14, -2, v14
	s_addk_i32 s31, 0x800
	s_addk_i32 s30, 0x800
	v_cmp_eq_u32_e32 vcc, 0, v14
	v_add_u32_e32 v13, 0x800, v13
	v_add_u32_e32 v12, 0x800, v12
	s_or_b64 s[28:29], vcc, s[28:29]
	s_waitcnt vmcnt(3)
	v_mov_b32_e32 v16, v24
	s_waitcnt vmcnt(1)
	v_mov_b32_e32 v19, v28
	v_mov_b32_e32 v28, v27
	s_waitcnt vmcnt(0)
	v_mov_b32_e32 v17, v30
	v_mov_b32_e32 v30, v25
	;; [unrolled: 1-line block ×3, first 2 shown]
	v_pk_mul_f32 v[24:25], v[6:7], v[28:29]
	v_pk_mul_f32 v[26:27], v[2:3], v[28:29]
	v_pk_fma_f32 v[24:25], v[2:3], v[18:19], v[24:25] neg_lo:[0,0,1] neg_hi:[0,0,1]
	v_pk_fma_f32 v[18:19], v[6:7], v[18:19], v[26:27]
	v_pk_add_f32 v[16:17], v[16:17], v[24:25]
	v_pk_add_f32 v[18:19], v[18:19], v[30:31]
	v_mov_b32_e32 v24, v16
	v_mov_b32_e32 v25, v18
	;; [unrolled: 1-line block ×3, first 2 shown]
	global_store_dwordx2 v[20:21], v[24:25], off
	global_store_dwordx2 v[22:23], v[18:19], off
	s_andn2_b64 exec, exec, s[28:29]
	s_cbranch_execnz .LBB1_8
; %bb.9:
	s_or_b64 exec, exec, s[28:29]
	v_cmp_ne_u32_e32 vcc, v9, v1
	s_mov_b64 s[28:29], 0
                                        ; implicit-def: $vgpr12
                                        ; implicit-def: $vgpr11
	s_and_saveexec_b64 s[30:31], vcc
; %bb.10:
	v_lshlrev_b32_e32 v1, 10, v1
	v_add_u32_e32 v12, s24, v1
	s_mov_b64 s[28:29], exec
	v_add_u32_e32 v10, v10, v1
	v_add_u32_e32 v11, v0, v12
; %bb.11:
	s_or_b64 exec, exec, s[30:31]
	s_orn2_b64 s[28:29], s[28:29], exec
.LBB1_12:
	s_or_b64 exec, exec, s[26:27]
	s_andn2_b64 s[14:15], s[14:15], exec
	s_and_b64 s[24:25], s[28:29], exec
	s_or_b64 s[14:15], s[14:15], s[24:25]
.LBB1_13:
	s_or_b64 exec, exec, s[22:23]
	s_and_b64 exec, exec, s[14:15]
	s_cbranch_execz .LBB1_16
; %bb.14:
	s_lshl_b64 s[14:15], s[6:7], 3
	s_add_u32 s3, s14, s18
	s_addc_u32 s15, s15, s19
	s_add_u32 s14, s3, s16
	s_addc_u32 s15, s15, s17
	v_ashrrev_i32_e32 v13, 31, v12
	v_lshl_add_u64 v[14:15], v[12:13], 3, s[14:15]
	v_mov_b32_e32 v9, 0
	v_lshl_add_u64 v[14:15], v[14:15], 0, v[8:9]
	v_mov_b32_e32 v7, v6
	v_mov_b32_e32 v3, v2
	v_lshl_add_u64 v[14:15], s[12:13], 0, v[14:15]
	s_mov_b64 s[14:15], 0
	s_mov_b64 s[22:23], 0x2000
.LBB1_15:                               ; =>This Inner Loop Header: Depth=1
	v_ashrrev_i32_e32 v1, 31, v10
	v_mul_lo_u32 v9, s9, v10
	v_mad_u64_u32 v[16:17], s[24:25], s8, v10, 0
	v_mul_lo_u32 v1, s8, v1
	v_add3_u32 v17, v17, v1, v9
	v_lshl_add_u64 v[16:17], v[16:17], 3, s[4:5]
	global_load_dwordx2 v[18:19], v[16:17], off
	global_load_dwordx2 v[20:21], v[14:15], off
	v_add_u32_e32 v11, 0x400, v11
	v_add_u32_e32 v12, 0x400, v12
	v_cmp_le_i32_e32 vcc, s21, v11
	v_add_u32_e32 v10, v12, v0
	s_or_b64 s[14:15], vcc, s[14:15]
	s_waitcnt vmcnt(1)
	v_pk_mul_f32 v[16:17], v[6:7], v[18:19] op_sel:[0,1] op_sel_hi:[1,0]
	s_nop 0
	v_pk_fma_f32 v[22:23], v[2:3], v[18:19], v[16:17] neg_lo:[0,0,1] neg_hi:[0,0,1]
	v_pk_fma_f32 v[16:17], v[2:3], v[18:19], v[16:17]
	s_nop 0
	v_mov_b32_e32 v23, v17
	s_waitcnt vmcnt(0)
	v_pk_add_f32 v[16:17], v[20:21], v[22:23]
	global_store_dwordx2 v[14:15], v[16:17], off
	v_lshl_add_u64 v[14:15], v[14:15], 0, s[22:23]
	s_andn2_b64 exec, exec, s[14:15]
	s_cbranch_execnz .LBB1_15
.LBB1_16:
	s_or_b64 exec, exec, s[10:11]
	s_mov_b64 s[10:11], 0
.LBB1_17:
	s_and_b64 vcc, exec, s[10:11]
	s_cbranch_vccz .LBB1_32
; %bb.18:
	v_cmp_gt_i32_e32 vcc, s2, v0
	v_mov_b64_e32 v[12:13], 0
	v_mov_b32_e32 v1, v0
	s_and_saveexec_b64 s[10:11], vcc
	s_cbranch_execz .LBB1_30
; %bb.19:
	v_xad_u32 v3, v0, -1, s2
	s_movk_i32 s3, 0x3ff
	v_cmp_lt_u32_e32 vcc, s3, v3
	s_mov_b64 s[20:21], 0
                                        ; implicit-def: $vgpr1
                                        ; implicit-def: $vgpr12
	s_and_saveexec_b64 s[14:15], vcc
	s_xor_b64 s[14:15], exec, s[14:15]
	s_cbranch_execnz .LBB1_22
; %bb.20:
	s_or_saveexec_b64 s[14:15], s[14:15]
	v_mov_b32_e32 v10, v12
	s_xor_b64 exec, exec, s[14:15]
	s_cbranch_execnz .LBB1_25
.LBB1_21:
	s_or_b64 exec, exec, s[14:15]
	s_and_saveexec_b64 s[14:15], s[20:21]
	s_cbranch_execnz .LBB1_26
	s_branch .LBB1_29
.LBB1_22:
	v_lshrrev_b32_e32 v1, 10, v3
	v_add_u32_e32 v9, 1, v1
	v_and_b32_e32 v10, 0x7ffffe, v9
	s_mov_b32 s23, 0
	v_mov_b32_e32 v1, v0
	s_mov_b32 s3, s8
	s_mov_b32 s26, s9
	v_mov_b32_e32 v3, v2
	v_mov_b32_e32 v7, v6
	s_movk_i32 s24, 0x400
	v_mov_b32_e32 v11, v10
	s_mov_b32 s22, s23
.LBB1_23:                               ; =>This Inner Loop Header: Depth=1
	v_or_b32_e32 v25, s22, v0
	v_or_b32_e32 v23, s24, v1
	v_mad_u64_u32 v[16:17], s[28:29], s8, v25, 0
	v_mad_u64_u32 v[12:13], s[28:29], s3, v23, 0
	v_mov_b32_e32 v24, v17
	v_mov_b32_e32 v22, v13
	v_mad_u64_u32 v[24:25], s[28:29], s9, v25, v[24:25]
	v_mad_u64_u32 v[22:23], s[28:29], s26, v23, v[22:23]
	v_mov_b32_e32 v17, v24
	v_lshl_add_u64 v[14:15], s[22:23], 3, v[4:5]
	s_mov_b32 s25, s23
	v_mov_b32_e32 v13, v22
	v_lshl_add_u64 v[16:17], v[16:17], 3, s[4:5]
	v_lshl_add_u64 v[18:19], s[24:25], 3, v[4:5]
	global_load_dwordx2 v[20:21], v[14:15], off
	v_lshl_add_u64 v[12:13], v[12:13], 3, s[4:5]
	global_load_dwordx2 v[22:23], v[16:17], off
	global_load_dwordx2 v[24:25], v[12:13], off
	global_load_dwordx2 v[26:27], v[18:19], off
	v_add_u32_e32 v11, -2, v11
	s_addk_i32 s22, 0x800
	s_add_i32 s25, s24, 0x800
	v_cmp_eq_u32_e32 vcc, 0, v11
	v_mov_b32_e32 v13, s24
	s_mov_b32 s24, s25
	s_or_b64 s[20:21], vcc, s[20:21]
	s_waitcnt vmcnt(3)
	v_mov_b32_e32 v16, v20
	s_waitcnt vmcnt(2)
	v_mov_b32_e32 v20, v22
	;; [unrolled: 2-line block ×3, first 2 shown]
	v_mov_b32_e32 v26, v21
	v_mov_b32_e32 v21, v24
	;; [unrolled: 1-line block ×3, first 2 shown]
	v_pk_mul_f32 v[22:23], v[6:7], v[24:25]
	v_pk_mul_f32 v[24:25], v[2:3], v[24:25]
	v_pk_fma_f32 v[22:23], v[2:3], v[20:21], v[22:23] neg_lo:[0,0,1] neg_hi:[0,0,1]
	v_pk_fma_f32 v[20:21], v[6:7], v[20:21], v[24:25]
	v_pk_add_f32 v[16:17], v[16:17], v[22:23]
	v_pk_add_f32 v[20:21], v[20:21], v[26:27]
	v_mov_b32_e32 v22, v16
	v_mov_b32_e32 v23, v20
	;; [unrolled: 1-line block ×3, first 2 shown]
	global_store_dwordx2 v[14:15], v[22:23], off
	global_store_dwordx2 v[18:19], v[20:21], off
	s_andn2_b64 exec, exec, s[20:21]
	s_cbranch_execnz .LBB1_23
; %bb.24:
	s_or_b64 exec, exec, s[20:21]
	s_movk_i32 s3, 0x400
	v_cmp_ne_u32_e32 vcc, v9, v10
	v_lshlrev_b32_e32 v12, 10, v10
	v_add3_u32 v1, v13, v0, s3
	s_and_b64 s[20:21], vcc, exec
	s_or_saveexec_b64 s[14:15], s[14:15]
	v_mov_b32_e32 v10, v12
	s_xor_b64 exec, exec, s[14:15]
	s_cbranch_execz .LBB1_21
.LBB1_25:
	v_mov_b32_e32 v10, 0
	s_or_b64 s[20:21], s[20:21], exec
	s_or_b64 exec, exec, s[14:15]
	s_and_saveexec_b64 s[14:15], s[20:21]
	s_cbranch_execz .LBB1_29
.LBB1_26:
	s_lshl_b64 s[6:7], s[6:7], 3
	s_add_u32 s3, s6, s18
	s_addc_u32 s7, s7, s19
	s_add_u32 s6, s3, s16
	s_addc_u32 s7, s7, s17
	v_mov_b32_e32 v9, 0
	v_lshl_add_u64 v[12:13], s[6:7], 0, v[8:9]
	v_mov_b32_e32 v11, v9
	v_lshl_add_u64 v[8:9], v[10:11], 3, v[12:13]
	v_mov_b32_e32 v7, v6
	v_mov_b32_e32 v3, v2
	v_lshl_add_u64 v[8:9], s[12:13], 0, v[8:9]
	s_mov_b64 s[6:7], 0
	s_mov_b64 s[12:13], 0x2000
.LBB1_27:                               ; =>This Inner Loop Header: Depth=1
	v_add_u32_e32 v1, v0, v10
	v_mad_u64_u32 v[12:13], s[16:17], s8, v1, 0
	v_mov_b32_e32 v14, v13
	v_mad_u64_u32 v[14:15], s[16:17], s9, v1, v[14:15]
	v_mov_b32_e32 v13, v14
	v_lshl_add_u64 v[12:13], v[12:13], 3, s[4:5]
	global_load_dwordx2 v[14:15], v[12:13], off
	global_load_dwordx2 v[16:17], v[8:9], off
	v_add_u32_e32 v10, 0x400, v10
	v_add_u32_e32 v1, v0, v10
	v_cmp_le_i32_e32 vcc, s2, v1
	s_or_b64 s[6:7], vcc, s[6:7]
	s_waitcnt vmcnt(1)
	v_pk_mul_f32 v[12:13], v[6:7], v[14:15] op_sel:[0,1] op_sel_hi:[1,0]
	s_nop 0
	v_pk_fma_f32 v[18:19], v[2:3], v[14:15], v[12:13] neg_lo:[0,0,1] neg_hi:[0,0,1]
	v_pk_fma_f32 v[12:13], v[2:3], v[14:15], v[12:13]
	s_nop 0
	v_mov_b32_e32 v19, v13
	s_waitcnt vmcnt(0)
	v_pk_add_f32 v[12:13], v[16:17], v[18:19]
	global_store_dwordx2 v[8:9], v[12:13], off
	v_lshl_add_u64 v[8:9], v[8:9], 0, s[12:13]
	s_andn2_b64 exec, exec, s[6:7]
	s_cbranch_execnz .LBB1_27
; %bb.28:
	s_or_b64 exec, exec, s[6:7]
	v_mov_b32_e32 v12, v10
.LBB1_29:
	s_or_b64 exec, exec, s[14:15]
	v_mov_b32_e32 v13, 0
.LBB1_30:
	s_or_b64 exec, exec, s[10:11]
	v_cmp_eq_u32_e32 vcc, s2, v1
	s_and_saveexec_b64 s[2:3], vcc
	s_cbranch_execz .LBB1_32
; %bb.31:
	v_lshl_add_u64 v[0:1], v[12:13], 3, v[4:5]
	global_load_dword v3, v[0:1], off
	s_load_dwordx2 s[2:3], s[0:1], 0x0
	s_waitcnt lgkmcnt(0)
	v_mul_f32_e32 v4, s3, v6
	v_fma_f32 v2, v2, s2, -v4
	s_waitcnt vmcnt(0)
	v_add_f32_e32 v2, v3, v2
	v_mov_b32_e32 v3, 0
	global_store_dwordx2 v[0:1], v[2:3], off
.LBB1_32:
	s_endpgm
	.section	.rodata,"a",@progbits
	.p2align	6, 0x0
	.amdhsa_kernel _ZL18rocblas_her_kernelILi1024EfPK19rocblas_complex_numIfEPS1_EvbiT0_T1_lllT2_llli
		.amdhsa_group_segment_fixed_size 0
		.amdhsa_private_segment_fixed_size 0
		.amdhsa_kernarg_size 84
		.amdhsa_user_sgpr_count 2
		.amdhsa_user_sgpr_dispatch_ptr 0
		.amdhsa_user_sgpr_queue_ptr 0
		.amdhsa_user_sgpr_kernarg_segment_ptr 1
		.amdhsa_user_sgpr_dispatch_id 0
		.amdhsa_user_sgpr_kernarg_preload_length 0
		.amdhsa_user_sgpr_kernarg_preload_offset 0
		.amdhsa_user_sgpr_private_segment_size 0
		.amdhsa_uses_dynamic_stack 0
		.amdhsa_enable_private_segment 0
		.amdhsa_system_sgpr_workgroup_id_x 1
		.amdhsa_system_sgpr_workgroup_id_y 0
		.amdhsa_system_sgpr_workgroup_id_z 1
		.amdhsa_system_sgpr_workgroup_info 0
		.amdhsa_system_vgpr_workitem_id 0
		.amdhsa_next_free_vgpr 32
		.amdhsa_next_free_sgpr 38
		.amdhsa_accum_offset 32
		.amdhsa_reserve_vcc 1
		.amdhsa_float_round_mode_32 0
		.amdhsa_float_round_mode_16_64 0
		.amdhsa_float_denorm_mode_32 3
		.amdhsa_float_denorm_mode_16_64 3
		.amdhsa_dx10_clamp 1
		.amdhsa_ieee_mode 1
		.amdhsa_fp16_overflow 0
		.amdhsa_tg_split 0
		.amdhsa_exception_fp_ieee_invalid_op 0
		.amdhsa_exception_fp_denorm_src 0
		.amdhsa_exception_fp_ieee_div_zero 0
		.amdhsa_exception_fp_ieee_overflow 0
		.amdhsa_exception_fp_ieee_underflow 0
		.amdhsa_exception_fp_ieee_inexact 0
		.amdhsa_exception_int_div_zero 0
	.end_amdhsa_kernel
	.section	.text._ZL18rocblas_her_kernelILi1024EfPK19rocblas_complex_numIfEPS1_EvbiT0_T1_lllT2_llli,"axG",@progbits,_ZL18rocblas_her_kernelILi1024EfPK19rocblas_complex_numIfEPS1_EvbiT0_T1_lllT2_llli,comdat
.Lfunc_end1:
	.size	_ZL18rocblas_her_kernelILi1024EfPK19rocblas_complex_numIfEPS1_EvbiT0_T1_lllT2_llli, .Lfunc_end1-_ZL18rocblas_her_kernelILi1024EfPK19rocblas_complex_numIfEPS1_EvbiT0_T1_lllT2_llli
                                        ; -- End function
	.set _ZL18rocblas_her_kernelILi1024EfPK19rocblas_complex_numIfEPS1_EvbiT0_T1_lllT2_llli.num_vgpr, 32
	.set _ZL18rocblas_her_kernelILi1024EfPK19rocblas_complex_numIfEPS1_EvbiT0_T1_lllT2_llli.num_agpr, 0
	.set _ZL18rocblas_her_kernelILi1024EfPK19rocblas_complex_numIfEPS1_EvbiT0_T1_lllT2_llli.numbered_sgpr, 38
	.set _ZL18rocblas_her_kernelILi1024EfPK19rocblas_complex_numIfEPS1_EvbiT0_T1_lllT2_llli.num_named_barrier, 0
	.set _ZL18rocblas_her_kernelILi1024EfPK19rocblas_complex_numIfEPS1_EvbiT0_T1_lllT2_llli.private_seg_size, 0
	.set _ZL18rocblas_her_kernelILi1024EfPK19rocblas_complex_numIfEPS1_EvbiT0_T1_lllT2_llli.uses_vcc, 1
	.set _ZL18rocblas_her_kernelILi1024EfPK19rocblas_complex_numIfEPS1_EvbiT0_T1_lllT2_llli.uses_flat_scratch, 0
	.set _ZL18rocblas_her_kernelILi1024EfPK19rocblas_complex_numIfEPS1_EvbiT0_T1_lllT2_llli.has_dyn_sized_stack, 0
	.set _ZL18rocblas_her_kernelILi1024EfPK19rocblas_complex_numIfEPS1_EvbiT0_T1_lllT2_llli.has_recursion, 0
	.set _ZL18rocblas_her_kernelILi1024EfPK19rocblas_complex_numIfEPS1_EvbiT0_T1_lllT2_llli.has_indirect_call, 0
	.section	.AMDGPU.csdata,"",@progbits
; Kernel info:
; codeLenInByte = 1956
; TotalNumSgprs: 44
; NumVgprs: 32
; NumAgprs: 0
; TotalNumVgprs: 32
; ScratchSize: 0
; MemoryBound: 0
; FloatMode: 240
; IeeeMode: 1
; LDSByteSize: 0 bytes/workgroup (compile time only)
; SGPRBlocks: 5
; VGPRBlocks: 3
; NumSGPRsForWavesPerEU: 44
; NumVGPRsForWavesPerEU: 32
; AccumOffset: 32
; Occupancy: 8
; WaveLimiterHint : 0
; COMPUTE_PGM_RSRC2:SCRATCH_EN: 0
; COMPUTE_PGM_RSRC2:USER_SGPR: 2
; COMPUTE_PGM_RSRC2:TRAP_HANDLER: 0
; COMPUTE_PGM_RSRC2:TGID_X_EN: 1
; COMPUTE_PGM_RSRC2:TGID_Y_EN: 0
; COMPUTE_PGM_RSRC2:TGID_Z_EN: 1
; COMPUTE_PGM_RSRC2:TIDIG_COMP_CNT: 0
; COMPUTE_PGM_RSRC3_GFX90A:ACCUM_OFFSET: 7
; COMPUTE_PGM_RSRC3_GFX90A:TG_SPLIT: 0
	.section	.text._ZL18rocblas_her_kernelILi1024EPKdPK19rocblas_complex_numIdEPS3_EvbiT0_T1_lllT2_llli,"axG",@progbits,_ZL18rocblas_her_kernelILi1024EPKdPK19rocblas_complex_numIdEPS3_EvbiT0_T1_lllT2_llli,comdat
	.globl	_ZL18rocblas_her_kernelILi1024EPKdPK19rocblas_complex_numIdEPS3_EvbiT0_T1_lllT2_llli ; -- Begin function _ZL18rocblas_her_kernelILi1024EPKdPK19rocblas_complex_numIdEPS3_EvbiT0_T1_lllT2_llli
	.p2align	8
	.type	_ZL18rocblas_her_kernelILi1024EPKdPK19rocblas_complex_numIdEPS3_EvbiT0_T1_lllT2_llli,@function
_ZL18rocblas_her_kernelILi1024EPKdPK19rocblas_complex_numIdEPS3_EvbiT0_T1_lllT2_llli: ; @_ZL18rocblas_her_kernelILi1024EPKdPK19rocblas_complex_numIdEPS3_EvbiT0_T1_lllT2_llli
; %bb.0:
	s_load_dwordx16 s[4:19], s[0:1], 0x8
	s_waitcnt lgkmcnt(0)
	s_load_dwordx2 s[26:27], s[4:5], 0x0
	s_waitcnt lgkmcnt(0)
	v_cmp_eq_f64_e64 s[4:5], s[26:27], 0
	s_and_b64 vcc, exec, s[4:5]
	s_cbranch_vccnz .LBB2_15
; %bb.1:
	s_load_dwordx2 s[24:25], s[0:1], 0x0
	s_load_dwordx2 s[4:5], s[0:1], 0x48
	s_mul_i32 s13, s13, s3
	s_mul_i32 s17, s17, s2
	v_mov_b32_e32 v9, 0
	s_waitcnt lgkmcnt(0)
	s_and_b32 s22, s24, 1
	s_mul_i32 s1, s5, s3
	s_mul_hi_u32 s5, s4, s3
	s_mul_i32 s0, s4, s3
	s_add_i32 s1, s5, s1
	s_lshl_b64 s[0:1], s[0:1], 4
	s_add_u32 s20, s14, s0
	s_addc_u32 s21, s15, s1
	s_lshl_b64 s[4:5], s[18:19], 4
	s_add_u32 s28, s20, s4
	s_mul_hi_u32 s18, s12, s3
	s_addc_u32 s29, s21, s5
	s_add_i32 s13, s18, s13
	s_mul_i32 s12, s12, s3
	s_lshl_b64 s[12:13], s[12:13], 4
	s_add_u32 s3, s6, s12
	s_addc_u32 s19, s7, s13
	s_lshl_b64 s[8:9], s[8:9], 4
	s_add_u32 s18, s3, s8
	s_addc_u32 s19, s19, s9
	s_ashr_i32 s3, s2, 31
	s_mul_hi_u32 s20, s16, s2
	s_mul_i32 s21, s16, s3
	s_add_i32 s20, s20, s21
	s_add_i32 s17, s20, s17
	s_mul_hi_u32 s20, s10, s2
	s_mul_i32 s21, s10, s3
	s_add_i32 s20, s20, s21
	s_mul_i32 s21, s11, s2
	s_add_i32 s21, s20, s21
	s_mul_i32 s20, s10, s2
	s_lshl_b64 s[20:21], s[20:21], 4
	s_add_u32 s30, s18, s20
	s_addc_u32 s31, s19, s21
	s_cmp_eq_u32 s22, 0
	s_load_dwordx4 s[20:23], s[30:31], 0x0
	v_cmp_gt_i32_e32 vcc, s25, v0
	s_mul_i32 s16, s16, s2
	s_waitcnt lgkmcnt(0)
	v_mul_f64 v[4:5], s[22:23], 0
	v_cndmask_b32_e32 v1, 0, v0, vcc
	v_mov_b64_e32 v[6:7], s[20:21]
	v_lshlrev_b32_e32 v8, 4, v1
	v_fmac_f64_e32 v[4:5], s[26:27], v[6:7]
	v_mov_b64_e32 v[6:7], s[22:23]
	v_lshl_add_u64 v[2:3], s[28:29], 0, v[8:9]
	v_mul_f64 v[6:7], s[26:27], v[6:7]
	v_lshl_add_u64 v[2:3], s[16:17], 4, v[2:3]
	v_fma_f64 v[6:7], s[20:21], 0, -v[6:7]
	s_mov_b64 s[26:27], -1
	s_cbranch_scc0 .LBB2_8
; %bb.2:
	v_cmp_eq_u32_e32 vcc, 0, v0
	s_and_saveexec_b64 s[26:27], vcc
	s_cbranch_execz .LBB2_4
; %bb.3:
	v_lshl_add_u64 v[14:15], s[2:3], 4, v[2:3]
	global_load_dwordx2 v[10:11], v[14:15], off
	v_mul_f64 v[16:17], s[22:23], v[6:7]
	v_mov_b32_e32 v12, 0
	v_fma_f64 v[16:17], s[20:21], v[4:5], -v[16:17]
	v_mov_b32_e32 v13, v12
	s_waitcnt vmcnt(0)
	v_add_f64 v[10:11], v[16:17], v[10:11]
	global_store_dwordx4 v[14:15], v[10:13], off
.LBB2_4:
	s_or_b64 exec, exec, s[26:27]
	s_add_i32 s28, s2, 1
	v_add_u32_e32 v1, s28, v0
	v_cmp_gt_i32_e32 vcc, s25, v1
	s_and_saveexec_b64 s[26:27], vcc
	s_cbranch_execz .LBB2_7
; %bb.5:
	s_lshl_b64 s[30:31], s[16:17], 4
	s_add_u32 s3, s30, s0
	s_addc_u32 s24, s31, s1
	s_add_u32 s3, s3, s4
	s_addc_u32 s24, s24, s5
	s_ashr_i32 s29, s28, 31
	s_lshl_b64 s[28:29], s[28:29], 4
	s_add_u32 s3, s3, s28
	s_addc_u32 s24, s24, s29
	s_add_u32 s28, s14, s3
	v_mov_b32_e32 v9, 0
	s_addc_u32 s29, s15, s24
	v_lshl_add_u64 v[10:11], s[28:29], 0, v[8:9]
	v_lshl_add_u64 v[10:11], v[10:11], 0, 8
	s_mov_b64 s[28:29], 0
	s_mov_b64 s[30:31], 0x4000
.LBB2_6:                                ; =>This Inner Loop Header: Depth=1
	v_ashrrev_i32_e32 v9, 31, v1
	v_mul_lo_u32 v14, s11, v1
	v_mad_u64_u32 v[12:13], s[34:35], s10, v1, 0
	v_mul_lo_u32 v9, s10, v9
	v_add3_u32 v13, v13, v9, v14
	v_lshl_add_u64 v[20:21], v[12:13], 4, s[18:19]
	global_load_dwordx4 v[12:15], v[20:21], off
	global_load_dwordx4 v[16:19], v[10:11], off offset:-8
	v_add_u32_e32 v1, 0x400, v1
	v_cmp_le_i32_e32 vcc, s25, v1
	s_or_b64 s[28:29], vcc, s[28:29]
	s_waitcnt vmcnt(1)
	v_mul_f64 v[20:21], v[6:7], v[14:15]
	v_mul_f64 v[14:15], v[4:5], v[14:15]
	v_fma_f64 v[20:21], v[4:5], v[12:13], -v[20:21]
	v_fmac_f64_e32 v[14:15], v[6:7], v[12:13]
	s_waitcnt vmcnt(0)
	v_add_f64 v[12:13], v[16:17], v[20:21]
	v_add_f64 v[14:15], v[14:15], v[18:19]
	global_store_dwordx4 v[10:11], v[12:15], off offset:-8
	v_lshl_add_u64 v[10:11], v[10:11], 0, s[30:31]
	s_andn2_b64 exec, exec, s[28:29]
	s_cbranch_execnz .LBB2_6
.LBB2_7:
	s_or_b64 exec, exec, s[26:27]
	s_mov_b64 s[26:27], 0
.LBB2_8:
	s_and_b64 vcc, exec, s[26:27]
	s_cbranch_vccz .LBB2_15
; %bb.9:
	v_cmp_gt_i32_e32 vcc, s2, v0
	v_mov_b64_e32 v[12:13], 0
	v_mov_b32_e32 v1, v0
	s_and_saveexec_b64 s[18:19], vcc
	s_cbranch_execz .LBB2_13
; %bb.10:
	v_mad_u64_u32 v[10:11], s[24:25], s10, v0, 0
	s_add_u32 s3, s6, s8
	v_mov_b32_e32 v12, v11
	s_addc_u32 s7, s7, s9
	v_mad_u64_u32 v[12:13], s[24:25], s11, v0, v[12:13]
	s_add_u32 s6, s3, s12
	v_mov_b32_e32 v11, v12
	s_addc_u32 s7, s7, s13
	v_lshl_add_u64 v[10:11], v[10:11], 4, s[6:7]
	s_lshl_b64 s[6:7], s[10:11], 14
	s_lshl_b64 s[8:9], s[16:17], 4
	s_add_u32 s0, s8, s0
	s_addc_u32 s1, s9, s1
	s_add_u32 s0, s0, s4
	s_addc_u32 s1, s1, s5
	s_add_u32 s0, s14, s0
	v_mov_b32_e32 v9, 0
	s_addc_u32 s1, s15, s1
	v_lshl_add_u64 v[8:9], s[0:1], 0, v[8:9]
	v_lshl_add_u64 v[10:11], v[10:11], 0, 8
	;; [unrolled: 1-line block ×3, first 2 shown]
	s_mov_b32 s3, 0
	s_mov_b64 s[0:1], 0
	s_mov_b64 s[4:5], 0x4000
.LBB2_11:                               ; =>This Inner Loop Header: Depth=1
	global_load_dwordx4 v[14:17], v[10:11], off offset:-8
	global_load_dwordx4 v[18:21], v[8:9], off offset:-8
	s_addk_i32 s3, 0x400
	v_add_u32_e32 v1, s3, v0
	v_cmp_le_i32_e32 vcc, s2, v1
	v_lshl_add_u64 v[10:11], v[10:11], 0, s[6:7]
	v_mov_b32_e32 v12, s3
	s_or_b64 s[0:1], vcc, s[0:1]
	s_waitcnt vmcnt(1)
	v_mul_f64 v[22:23], v[6:7], v[16:17]
	v_mul_f64 v[16:17], v[4:5], v[16:17]
	v_fma_f64 v[22:23], v[4:5], v[14:15], -v[22:23]
	v_fmac_f64_e32 v[16:17], v[6:7], v[14:15]
	s_waitcnt vmcnt(0)
	v_add_f64 v[14:15], v[18:19], v[22:23]
	v_add_f64 v[16:17], v[16:17], v[20:21]
	global_store_dwordx4 v[8:9], v[14:17], off offset:-8
	v_lshl_add_u64 v[8:9], v[8:9], 0, s[4:5]
	s_andn2_b64 exec, exec, s[0:1]
	s_cbranch_execnz .LBB2_11
; %bb.12:
	s_or_b64 exec, exec, s[0:1]
	v_mov_b32_e32 v13, 0
.LBB2_13:
	s_or_b64 exec, exec, s[18:19]
	v_cmp_eq_u32_e32 vcc, s2, v1
	s_and_saveexec_b64 s[0:1], vcc
	s_cbranch_execz .LBB2_15
; %bb.14:
	v_lshl_add_u64 v[8:9], v[12:13], 4, v[2:3]
	global_load_dwordx2 v[0:1], v[8:9], off
	v_mul_f64 v[6:7], s[22:23], v[6:7]
	v_mov_b32_e32 v2, 0
	v_fma_f64 v[4:5], s[20:21], v[4:5], -v[6:7]
	v_mov_b32_e32 v3, v2
	s_waitcnt vmcnt(0)
	v_add_f64 v[0:1], v[4:5], v[0:1]
	global_store_dwordx4 v[8:9], v[0:3], off
.LBB2_15:
	s_endpgm
	.section	.rodata,"a",@progbits
	.p2align	6, 0x0
	.amdhsa_kernel _ZL18rocblas_her_kernelILi1024EPKdPK19rocblas_complex_numIdEPS3_EvbiT0_T1_lllT2_llli
		.amdhsa_group_segment_fixed_size 0
		.amdhsa_private_segment_fixed_size 0
		.amdhsa_kernarg_size 84
		.amdhsa_user_sgpr_count 2
		.amdhsa_user_sgpr_dispatch_ptr 0
		.amdhsa_user_sgpr_queue_ptr 0
		.amdhsa_user_sgpr_kernarg_segment_ptr 1
		.amdhsa_user_sgpr_dispatch_id 0
		.amdhsa_user_sgpr_kernarg_preload_length 0
		.amdhsa_user_sgpr_kernarg_preload_offset 0
		.amdhsa_user_sgpr_private_segment_size 0
		.amdhsa_uses_dynamic_stack 0
		.amdhsa_enable_private_segment 0
		.amdhsa_system_sgpr_workgroup_id_x 1
		.amdhsa_system_sgpr_workgroup_id_y 0
		.amdhsa_system_sgpr_workgroup_id_z 1
		.amdhsa_system_sgpr_workgroup_info 0
		.amdhsa_system_vgpr_workitem_id 0
		.amdhsa_next_free_vgpr 24
		.amdhsa_next_free_sgpr 36
		.amdhsa_accum_offset 24
		.amdhsa_reserve_vcc 1
		.amdhsa_float_round_mode_32 0
		.amdhsa_float_round_mode_16_64 0
		.amdhsa_float_denorm_mode_32 3
		.amdhsa_float_denorm_mode_16_64 3
		.amdhsa_dx10_clamp 1
		.amdhsa_ieee_mode 1
		.amdhsa_fp16_overflow 0
		.amdhsa_tg_split 0
		.amdhsa_exception_fp_ieee_invalid_op 0
		.amdhsa_exception_fp_denorm_src 0
		.amdhsa_exception_fp_ieee_div_zero 0
		.amdhsa_exception_fp_ieee_overflow 0
		.amdhsa_exception_fp_ieee_underflow 0
		.amdhsa_exception_fp_ieee_inexact 0
		.amdhsa_exception_int_div_zero 0
	.end_amdhsa_kernel
	.section	.text._ZL18rocblas_her_kernelILi1024EPKdPK19rocblas_complex_numIdEPS3_EvbiT0_T1_lllT2_llli,"axG",@progbits,_ZL18rocblas_her_kernelILi1024EPKdPK19rocblas_complex_numIdEPS3_EvbiT0_T1_lllT2_llli,comdat
.Lfunc_end2:
	.size	_ZL18rocblas_her_kernelILi1024EPKdPK19rocblas_complex_numIdEPS3_EvbiT0_T1_lllT2_llli, .Lfunc_end2-_ZL18rocblas_her_kernelILi1024EPKdPK19rocblas_complex_numIdEPS3_EvbiT0_T1_lllT2_llli
                                        ; -- End function
	.set _ZL18rocblas_her_kernelILi1024EPKdPK19rocblas_complex_numIdEPS3_EvbiT0_T1_lllT2_llli.num_vgpr, 24
	.set _ZL18rocblas_her_kernelILi1024EPKdPK19rocblas_complex_numIdEPS3_EvbiT0_T1_lllT2_llli.num_agpr, 0
	.set _ZL18rocblas_her_kernelILi1024EPKdPK19rocblas_complex_numIdEPS3_EvbiT0_T1_lllT2_llli.numbered_sgpr, 36
	.set _ZL18rocblas_her_kernelILi1024EPKdPK19rocblas_complex_numIdEPS3_EvbiT0_T1_lllT2_llli.num_named_barrier, 0
	.set _ZL18rocblas_her_kernelILi1024EPKdPK19rocblas_complex_numIdEPS3_EvbiT0_T1_lllT2_llli.private_seg_size, 0
	.set _ZL18rocblas_her_kernelILi1024EPKdPK19rocblas_complex_numIdEPS3_EvbiT0_T1_lllT2_llli.uses_vcc, 1
	.set _ZL18rocblas_her_kernelILi1024EPKdPK19rocblas_complex_numIdEPS3_EvbiT0_T1_lllT2_llli.uses_flat_scratch, 0
	.set _ZL18rocblas_her_kernelILi1024EPKdPK19rocblas_complex_numIdEPS3_EvbiT0_T1_lllT2_llli.has_dyn_sized_stack, 0
	.set _ZL18rocblas_her_kernelILi1024EPKdPK19rocblas_complex_numIdEPS3_EvbiT0_T1_lllT2_llli.has_recursion, 0
	.set _ZL18rocblas_her_kernelILi1024EPKdPK19rocblas_complex_numIdEPS3_EvbiT0_T1_lllT2_llli.has_indirect_call, 0
	.section	.AMDGPU.csdata,"",@progbits
; Kernel info:
; codeLenInByte = 992
; TotalNumSgprs: 42
; NumVgprs: 24
; NumAgprs: 0
; TotalNumVgprs: 24
; ScratchSize: 0
; MemoryBound: 0
; FloatMode: 240
; IeeeMode: 1
; LDSByteSize: 0 bytes/workgroup (compile time only)
; SGPRBlocks: 5
; VGPRBlocks: 2
; NumSGPRsForWavesPerEU: 42
; NumVGPRsForWavesPerEU: 24
; AccumOffset: 24
; Occupancy: 8
; WaveLimiterHint : 1
; COMPUTE_PGM_RSRC2:SCRATCH_EN: 0
; COMPUTE_PGM_RSRC2:USER_SGPR: 2
; COMPUTE_PGM_RSRC2:TRAP_HANDLER: 0
; COMPUTE_PGM_RSRC2:TGID_X_EN: 1
; COMPUTE_PGM_RSRC2:TGID_Y_EN: 0
; COMPUTE_PGM_RSRC2:TGID_Z_EN: 1
; COMPUTE_PGM_RSRC2:TIDIG_COMP_CNT: 0
; COMPUTE_PGM_RSRC3_GFX90A:ACCUM_OFFSET: 5
; COMPUTE_PGM_RSRC3_GFX90A:TG_SPLIT: 0
	.section	.text._ZL18rocblas_her_kernelILi1024EdPK19rocblas_complex_numIdEPS1_EvbiT0_T1_lllT2_llli,"axG",@progbits,_ZL18rocblas_her_kernelILi1024EdPK19rocblas_complex_numIdEPS1_EvbiT0_T1_lllT2_llli,comdat
	.globl	_ZL18rocblas_her_kernelILi1024EdPK19rocblas_complex_numIdEPS1_EvbiT0_T1_lllT2_llli ; -- Begin function _ZL18rocblas_her_kernelILi1024EdPK19rocblas_complex_numIdEPS1_EvbiT0_T1_lllT2_llli
	.p2align	8
	.type	_ZL18rocblas_her_kernelILi1024EdPK19rocblas_complex_numIdEPS1_EvbiT0_T1_lllT2_llli,@function
_ZL18rocblas_her_kernelILi1024EdPK19rocblas_complex_numIdEPS1_EvbiT0_T1_lllT2_llli: ; @_ZL18rocblas_her_kernelILi1024EdPK19rocblas_complex_numIdEPS1_EvbiT0_T1_lllT2_llli
; %bb.0:
	s_load_dwordx16 s[4:19], s[0:1], 0x8
	s_waitcnt lgkmcnt(0)
	v_cmp_eq_f64_e64 s[20:21], s[4:5], 0
	s_and_b64 vcc, exec, s[20:21]
	s_cbranch_vccnz .LBB3_15
; %bb.1:
	s_load_dwordx2 s[24:25], s[0:1], 0x0
	s_load_dwordx2 s[20:21], s[0:1], 0x48
	s_mul_i32 s13, s13, s3
	s_mul_i32 s17, s17, s2
	v_mov_b32_e32 v9, 0
	s_waitcnt lgkmcnt(0)
	s_and_b32 s22, s24, 1
	s_mul_i32 s1, s21, s3
	s_mul_hi_u32 s21, s20, s3
	s_mul_i32 s0, s20, s3
	s_add_i32 s1, s21, s1
	s_lshl_b64 s[0:1], s[0:1], 4
	s_add_u32 s20, s14, s0
	s_addc_u32 s21, s15, s1
	s_lshl_b64 s[18:19], s[18:19], 4
	s_add_u32 s28, s20, s18
	s_mul_hi_u32 s20, s12, s3
	s_addc_u32 s29, s21, s19
	s_add_i32 s13, s20, s13
	s_mul_i32 s12, s12, s3
	s_lshl_b64 s[12:13], s[12:13], 4
	s_add_u32 s3, s6, s12
	s_addc_u32 s20, s7, s13
	s_lshl_b64 s[8:9], s[8:9], 4
	s_add_u32 s26, s3, s8
	s_addc_u32 s27, s20, s9
	s_ashr_i32 s3, s2, 31
	s_mul_hi_u32 s20, s16, s2
	s_mul_i32 s21, s16, s3
	s_add_i32 s20, s20, s21
	s_add_i32 s17, s20, s17
	s_mul_hi_u32 s20, s10, s2
	s_mul_i32 s21, s10, s3
	s_add_i32 s20, s20, s21
	s_mul_i32 s21, s11, s2
	s_add_i32 s21, s20, s21
	s_mul_i32 s20, s10, s2
	s_lshl_b64 s[20:21], s[20:21], 4
	s_add_u32 s30, s26, s20
	s_addc_u32 s31, s27, s21
	s_cmp_eq_u32 s22, 0
	s_load_dwordx4 s[20:23], s[30:31], 0x0
	v_cmp_gt_i32_e32 vcc, s25, v0
	s_mul_i32 s16, s16, s2
	s_waitcnt lgkmcnt(0)
	v_mul_f64 v[4:5], s[22:23], 0
	v_cndmask_b32_e32 v1, 0, v0, vcc
	v_mov_b64_e32 v[6:7], s[20:21]
	v_lshlrev_b32_e32 v8, 4, v1
	v_fmac_f64_e32 v[4:5], s[4:5], v[6:7]
	v_mov_b64_e32 v[6:7], s[22:23]
	v_lshl_add_u64 v[2:3], s[28:29], 0, v[8:9]
	v_mul_f64 v[6:7], s[4:5], v[6:7]
	v_lshl_add_u64 v[2:3], s[16:17], 4, v[2:3]
	v_fma_f64 v[6:7], s[20:21], 0, -v[6:7]
	s_mov_b64 s[4:5], -1
	s_cbranch_scc0 .LBB3_8
; %bb.2:
	v_cmp_eq_u32_e32 vcc, 0, v0
	s_and_saveexec_b64 s[4:5], vcc
	s_cbranch_execz .LBB3_4
; %bb.3:
	v_lshl_add_u64 v[14:15], s[2:3], 4, v[2:3]
	global_load_dwordx2 v[10:11], v[14:15], off
	v_mul_f64 v[16:17], s[22:23], v[6:7]
	v_mov_b32_e32 v12, 0
	v_fma_f64 v[16:17], s[20:21], v[4:5], -v[16:17]
	v_mov_b32_e32 v13, v12
	s_waitcnt vmcnt(0)
	v_add_f64 v[10:11], v[16:17], v[10:11]
	global_store_dwordx4 v[14:15], v[10:13], off
.LBB3_4:
	s_or_b64 exec, exec, s[4:5]
	s_add_i32 s28, s2, 1
	v_add_u32_e32 v1, s28, v0
	v_cmp_gt_i32_e32 vcc, s25, v1
	s_and_saveexec_b64 s[4:5], vcc
	s_cbranch_execz .LBB3_7
; %bb.5:
	s_lshl_b64 s[30:31], s[16:17], 4
	s_add_u32 s3, s30, s0
	s_addc_u32 s24, s31, s1
	s_add_u32 s3, s3, s18
	s_addc_u32 s24, s24, s19
	s_ashr_i32 s29, s28, 31
	s_lshl_b64 s[28:29], s[28:29], 4
	s_add_u32 s3, s3, s28
	s_addc_u32 s24, s24, s29
	s_add_u32 s28, s14, s3
	v_mov_b32_e32 v9, 0
	s_addc_u32 s29, s15, s24
	v_lshl_add_u64 v[10:11], s[28:29], 0, v[8:9]
	v_lshl_add_u64 v[10:11], v[10:11], 0, 8
	s_mov_b64 s[28:29], 0
	s_mov_b64 s[30:31], 0x4000
.LBB3_6:                                ; =>This Inner Loop Header: Depth=1
	v_ashrrev_i32_e32 v9, 31, v1
	v_mul_lo_u32 v14, s11, v1
	v_mad_u64_u32 v[12:13], s[34:35], s10, v1, 0
	v_mul_lo_u32 v9, s10, v9
	v_add3_u32 v13, v13, v9, v14
	v_lshl_add_u64 v[20:21], v[12:13], 4, s[26:27]
	global_load_dwordx4 v[12:15], v[20:21], off
	global_load_dwordx4 v[16:19], v[10:11], off offset:-8
	v_add_u32_e32 v1, 0x400, v1
	v_cmp_le_i32_e32 vcc, s25, v1
	s_or_b64 s[28:29], vcc, s[28:29]
	s_waitcnt vmcnt(1)
	v_mul_f64 v[20:21], v[6:7], v[14:15]
	v_mul_f64 v[14:15], v[4:5], v[14:15]
	v_fma_f64 v[20:21], v[4:5], v[12:13], -v[20:21]
	v_fmac_f64_e32 v[14:15], v[6:7], v[12:13]
	s_waitcnt vmcnt(0)
	v_add_f64 v[12:13], v[16:17], v[20:21]
	v_add_f64 v[14:15], v[14:15], v[18:19]
	global_store_dwordx4 v[10:11], v[12:15], off offset:-8
	v_lshl_add_u64 v[10:11], v[10:11], 0, s[30:31]
	s_andn2_b64 exec, exec, s[28:29]
	s_cbranch_execnz .LBB3_6
.LBB3_7:
	s_or_b64 exec, exec, s[4:5]
	s_mov_b64 s[4:5], 0
.LBB3_8:
	s_and_b64 vcc, exec, s[4:5]
	s_cbranch_vccz .LBB3_15
; %bb.9:
	v_cmp_gt_i32_e32 vcc, s2, v0
	v_mov_b64_e32 v[12:13], 0
	v_mov_b32_e32 v1, v0
	s_and_saveexec_b64 s[4:5], vcc
	s_cbranch_execz .LBB3_13
; %bb.10:
	v_mad_u64_u32 v[10:11], s[24:25], s10, v0, 0
	s_add_u32 s3, s6, s8
	v_mov_b32_e32 v12, v11
	s_addc_u32 s7, s7, s9
	v_mad_u64_u32 v[12:13], s[24:25], s11, v0, v[12:13]
	s_add_u32 s6, s3, s12
	v_mov_b32_e32 v11, v12
	s_addc_u32 s7, s7, s13
	v_lshl_add_u64 v[10:11], v[10:11], 4, s[6:7]
	s_lshl_b64 s[6:7], s[10:11], 14
	s_lshl_b64 s[8:9], s[16:17], 4
	s_add_u32 s0, s8, s0
	s_addc_u32 s1, s9, s1
	s_add_u32 s0, s0, s18
	s_addc_u32 s1, s1, s19
	s_add_u32 s0, s14, s0
	v_mov_b32_e32 v9, 0
	s_addc_u32 s1, s15, s1
	v_lshl_add_u64 v[8:9], s[0:1], 0, v[8:9]
	v_lshl_add_u64 v[10:11], v[10:11], 0, 8
	;; [unrolled: 1-line block ×3, first 2 shown]
	s_mov_b32 s3, 0
	s_mov_b64 s[0:1], 0
	s_mov_b64 s[8:9], 0x4000
.LBB3_11:                               ; =>This Inner Loop Header: Depth=1
	global_load_dwordx4 v[14:17], v[10:11], off offset:-8
	global_load_dwordx4 v[18:21], v[8:9], off offset:-8
	s_addk_i32 s3, 0x400
	v_add_u32_e32 v1, s3, v0
	v_cmp_le_i32_e32 vcc, s2, v1
	v_lshl_add_u64 v[10:11], v[10:11], 0, s[6:7]
	v_mov_b32_e32 v12, s3
	s_or_b64 s[0:1], vcc, s[0:1]
	s_waitcnt vmcnt(1)
	v_mul_f64 v[22:23], v[6:7], v[16:17]
	v_mul_f64 v[16:17], v[4:5], v[16:17]
	v_fma_f64 v[22:23], v[4:5], v[14:15], -v[22:23]
	v_fmac_f64_e32 v[16:17], v[6:7], v[14:15]
	s_waitcnt vmcnt(0)
	v_add_f64 v[14:15], v[18:19], v[22:23]
	v_add_f64 v[16:17], v[16:17], v[20:21]
	global_store_dwordx4 v[8:9], v[14:17], off offset:-8
	v_lshl_add_u64 v[8:9], v[8:9], 0, s[8:9]
	s_andn2_b64 exec, exec, s[0:1]
	s_cbranch_execnz .LBB3_11
; %bb.12:
	s_or_b64 exec, exec, s[0:1]
	v_mov_b32_e32 v13, 0
.LBB3_13:
	s_or_b64 exec, exec, s[4:5]
	v_cmp_eq_u32_e32 vcc, s2, v1
	s_and_saveexec_b64 s[0:1], vcc
	s_cbranch_execz .LBB3_15
; %bb.14:
	v_lshl_add_u64 v[8:9], v[12:13], 4, v[2:3]
	global_load_dwordx2 v[0:1], v[8:9], off
	v_mul_f64 v[6:7], s[22:23], v[6:7]
	v_mov_b32_e32 v2, 0
	v_fma_f64 v[4:5], s[20:21], v[4:5], -v[6:7]
	v_mov_b32_e32 v3, v2
	s_waitcnt vmcnt(0)
	v_add_f64 v[0:1], v[4:5], v[0:1]
	global_store_dwordx4 v[8:9], v[0:3], off
.LBB3_15:
	s_endpgm
	.section	.rodata,"a",@progbits
	.p2align	6, 0x0
	.amdhsa_kernel _ZL18rocblas_her_kernelILi1024EdPK19rocblas_complex_numIdEPS1_EvbiT0_T1_lllT2_llli
		.amdhsa_group_segment_fixed_size 0
		.amdhsa_private_segment_fixed_size 0
		.amdhsa_kernarg_size 84
		.amdhsa_user_sgpr_count 2
		.amdhsa_user_sgpr_dispatch_ptr 0
		.amdhsa_user_sgpr_queue_ptr 0
		.amdhsa_user_sgpr_kernarg_segment_ptr 1
		.amdhsa_user_sgpr_dispatch_id 0
		.amdhsa_user_sgpr_kernarg_preload_length 0
		.amdhsa_user_sgpr_kernarg_preload_offset 0
		.amdhsa_user_sgpr_private_segment_size 0
		.amdhsa_uses_dynamic_stack 0
		.amdhsa_enable_private_segment 0
		.amdhsa_system_sgpr_workgroup_id_x 1
		.amdhsa_system_sgpr_workgroup_id_y 0
		.amdhsa_system_sgpr_workgroup_id_z 1
		.amdhsa_system_sgpr_workgroup_info 0
		.amdhsa_system_vgpr_workitem_id 0
		.amdhsa_next_free_vgpr 24
		.amdhsa_next_free_sgpr 36
		.amdhsa_accum_offset 24
		.amdhsa_reserve_vcc 1
		.amdhsa_float_round_mode_32 0
		.amdhsa_float_round_mode_16_64 0
		.amdhsa_float_denorm_mode_32 3
		.amdhsa_float_denorm_mode_16_64 3
		.amdhsa_dx10_clamp 1
		.amdhsa_ieee_mode 1
		.amdhsa_fp16_overflow 0
		.amdhsa_tg_split 0
		.amdhsa_exception_fp_ieee_invalid_op 0
		.amdhsa_exception_fp_denorm_src 0
		.amdhsa_exception_fp_ieee_div_zero 0
		.amdhsa_exception_fp_ieee_overflow 0
		.amdhsa_exception_fp_ieee_underflow 0
		.amdhsa_exception_fp_ieee_inexact 0
		.amdhsa_exception_int_div_zero 0
	.end_amdhsa_kernel
	.section	.text._ZL18rocblas_her_kernelILi1024EdPK19rocblas_complex_numIdEPS1_EvbiT0_T1_lllT2_llli,"axG",@progbits,_ZL18rocblas_her_kernelILi1024EdPK19rocblas_complex_numIdEPS1_EvbiT0_T1_lllT2_llli,comdat
.Lfunc_end3:
	.size	_ZL18rocblas_her_kernelILi1024EdPK19rocblas_complex_numIdEPS1_EvbiT0_T1_lllT2_llli, .Lfunc_end3-_ZL18rocblas_her_kernelILi1024EdPK19rocblas_complex_numIdEPS1_EvbiT0_T1_lllT2_llli
                                        ; -- End function
	.set _ZL18rocblas_her_kernelILi1024EdPK19rocblas_complex_numIdEPS1_EvbiT0_T1_lllT2_llli.num_vgpr, 24
	.set _ZL18rocblas_her_kernelILi1024EdPK19rocblas_complex_numIdEPS1_EvbiT0_T1_lllT2_llli.num_agpr, 0
	.set _ZL18rocblas_her_kernelILi1024EdPK19rocblas_complex_numIdEPS1_EvbiT0_T1_lllT2_llli.numbered_sgpr, 36
	.set _ZL18rocblas_her_kernelILi1024EdPK19rocblas_complex_numIdEPS1_EvbiT0_T1_lllT2_llli.num_named_barrier, 0
	.set _ZL18rocblas_her_kernelILi1024EdPK19rocblas_complex_numIdEPS1_EvbiT0_T1_lllT2_llli.private_seg_size, 0
	.set _ZL18rocblas_her_kernelILi1024EdPK19rocblas_complex_numIdEPS1_EvbiT0_T1_lllT2_llli.uses_vcc, 1
	.set _ZL18rocblas_her_kernelILi1024EdPK19rocblas_complex_numIdEPS1_EvbiT0_T1_lllT2_llli.uses_flat_scratch, 0
	.set _ZL18rocblas_her_kernelILi1024EdPK19rocblas_complex_numIdEPS1_EvbiT0_T1_lllT2_llli.has_dyn_sized_stack, 0
	.set _ZL18rocblas_her_kernelILi1024EdPK19rocblas_complex_numIdEPS1_EvbiT0_T1_lllT2_llli.has_recursion, 0
	.set _ZL18rocblas_her_kernelILi1024EdPK19rocblas_complex_numIdEPS1_EvbiT0_T1_lllT2_llli.has_indirect_call, 0
	.section	.AMDGPU.csdata,"",@progbits
; Kernel info:
; codeLenInByte = 980
; TotalNumSgprs: 42
; NumVgprs: 24
; NumAgprs: 0
; TotalNumVgprs: 24
; ScratchSize: 0
; MemoryBound: 0
; FloatMode: 240
; IeeeMode: 1
; LDSByteSize: 0 bytes/workgroup (compile time only)
; SGPRBlocks: 5
; VGPRBlocks: 2
; NumSGPRsForWavesPerEU: 42
; NumVGPRsForWavesPerEU: 24
; AccumOffset: 24
; Occupancy: 8
; WaveLimiterHint : 1
; COMPUTE_PGM_RSRC2:SCRATCH_EN: 0
; COMPUTE_PGM_RSRC2:USER_SGPR: 2
; COMPUTE_PGM_RSRC2:TRAP_HANDLER: 0
; COMPUTE_PGM_RSRC2:TGID_X_EN: 1
; COMPUTE_PGM_RSRC2:TGID_Y_EN: 0
; COMPUTE_PGM_RSRC2:TGID_Z_EN: 1
; COMPUTE_PGM_RSRC2:TIDIG_COMP_CNT: 0
; COMPUTE_PGM_RSRC3_GFX90A:ACCUM_OFFSET: 5
; COMPUTE_PGM_RSRC3_GFX90A:TG_SPLIT: 0
	.section	.text._ZL18rocblas_her_kernelILi1024EPKfPKPK19rocblas_complex_numIfEPKPS3_EvbiT0_T1_lllT2_llli,"axG",@progbits,_ZL18rocblas_her_kernelILi1024EPKfPKPK19rocblas_complex_numIfEPKPS3_EvbiT0_T1_lllT2_llli,comdat
	.globl	_ZL18rocblas_her_kernelILi1024EPKfPKPK19rocblas_complex_numIfEPKPS3_EvbiT0_T1_lllT2_llli ; -- Begin function _ZL18rocblas_her_kernelILi1024EPKfPKPK19rocblas_complex_numIfEPKPS3_EvbiT0_T1_lllT2_llli
	.p2align	8
	.type	_ZL18rocblas_her_kernelILi1024EPKfPKPK19rocblas_complex_numIfEPKPS3_EvbiT0_T1_lllT2_llli,@function
_ZL18rocblas_her_kernelILi1024EPKfPKPK19rocblas_complex_numIfEPKPS3_EvbiT0_T1_lllT2_llli: ; @_ZL18rocblas_her_kernelILi1024EPKfPKPK19rocblas_complex_numIfEPKPS3_EvbiT0_T1_lllT2_llli
; %bb.0:
	s_load_dwordx8 s[4:11], s[0:1], 0x8
	s_mov_b32 s17, 0
	s_waitcnt lgkmcnt(0)
	s_load_dword s20, s[4:5], 0x0
	s_waitcnt lgkmcnt(0)
	v_cmp_eq_f32_e64 s[4:5], s20, 0
	s_and_b64 vcc, exec, s[4:5]
	s_cbranch_vccnz .LBB4_32
; %bb.1:
	s_load_dwordx2 s[18:19], s[0:1], 0x0
	s_load_dwordx4 s[12:15], s[0:1], 0x30
	s_load_dwordx2 s[4:5], s[0:1], 0x40
	s_mov_b32 s16, s3
	s_lshl_b64 s[0:1], s[16:17], 3
	s_waitcnt lgkmcnt(0)
	s_and_b32 s18, s18, 1
	s_add_u32 s12, s12, s0
	s_addc_u32 s13, s13, s1
	s_load_dwordx2 s[12:13], s[12:13], 0x0
	s_lshl_b64 s[16:17], s[4:5], 3
	s_mul_hi_u32 s21, s10, s2
	s_mul_i32 s15, s15, s2
	v_cmp_gt_i32_e32 vcc, s19, v0
	s_waitcnt lgkmcnt(0)
	s_add_u32 s22, s12, s16
	s_addc_u32 s23, s13, s17
	s_add_u32 s0, s6, s0
	s_addc_u32 s1, s7, s1
	s_load_dwordx2 s[0:1], s[0:1], 0x0
	s_lshl_b64 s[4:5], s[8:9], 3
	s_mul_hi_u32 s7, s14, s2
	s_mul_i32 s6, s11, s2
	v_cndmask_b32_e32 v1, 0, v0, vcc
	s_waitcnt lgkmcnt(0)
	s_add_u32 s4, s0, s4
	s_addc_u32 s5, s1, s5
	s_ashr_i32 s3, s2, 31
	s_mul_i32 s0, s14, s3
	s_mul_i32 s1, s10, s3
	s_add_i32 s0, s7, s0
	s_add_i32 s1, s21, s1
	;; [unrolled: 1-line block ×4, first 2 shown]
	s_mul_i32 s0, s10, s2
	s_lshl_b64 s[0:1], s[0:1], 3
	s_add_u32 s0, s4, s0
	s_addc_u32 s1, s5, s1
	v_mov_b64_e32 v[2:3], s[0:1]
	flat_load_dwordx2 v[6:7], v[2:3]
	v_mov_b32_e32 v9, 0
	v_lshlrev_b32_e32 v8, 3, v1
	s_mul_i32 s6, s14, s2
	v_lshl_add_u64 v[2:3], s[22:23], 0, v[8:9]
	v_lshl_add_u64 v[4:5], s[6:7], 3, v[2:3]
	s_cmp_eq_u32 s18, 0
	s_mov_b64 s[8:9], -1
	s_waitcnt vmcnt(0) lgkmcnt(0)
	v_mul_f32_e32 v2, 0, v7
	v_mul_f32_e32 v1, s20, v7
	v_fmac_f32_e32 v2, s20, v6
	v_fma_f32 v6, v6, 0, -v1
	s_cbranch_scc0 .LBB4_17
; %bb.2:
	v_cmp_eq_u32_e32 vcc, 0, v0
	s_and_saveexec_b64 s[8:9], vcc
	s_cbranch_execz .LBB4_4
; %bb.3:
	v_mov_b64_e32 v[10:11], s[0:1]
	flat_load_dwordx2 v[10:11], v[10:11]
	v_lshl_add_u64 v[12:13], s[2:3], 3, v[4:5]
	flat_load_dword v1, v[12:13]
	s_waitcnt vmcnt(0) lgkmcnt(0)
	v_mul_f32_e32 v3, v6, v11
	v_fma_f32 v3, v2, v10, -v3
	v_add_f32_e32 v10, v1, v3
	v_mov_b32_e32 v11, 0
	flat_store_dwordx2 v[12:13], v[10:11]
.LBB4_4:
	s_or_b64 exec, exec, s[8:9]
	s_add_i32 s22, s2, 1
	v_add_u32_e32 v10, s22, v0
	v_cmp_gt_i32_e32 vcc, s19, v10
	s_and_saveexec_b64 s[8:9], vcc
	s_cbranch_execz .LBB4_16
; %bb.5:
	v_add_u32_e32 v1, s2, v0
	v_add_u32_e32 v3, 0x401, v1
	v_max_i32_e32 v3, s19, v3
	v_sub_u32_e32 v1, v3, v1
	v_add_u32_e32 v1, -2, v1
	s_movk_i32 s3, 0x1c00
	v_cmp_gt_u32_e64 s[14:15], s3, v1
	s_movk_i32 s3, 0x1bff
	v_cmp_lt_u32_e32 vcc, s3, v1
	v_mov_b32_e32 v12, s22
	v_mov_b32_e32 v11, v10
	s_and_saveexec_b64 s[20:21], vcc
	s_cbranch_execz .LBB4_13
; %bb.6:
	v_and_b32_e32 v3, 0xfffffc00, v1
	v_add_u32_e32 v3, v10, v3
	v_cmp_ge_i32_e32 vcc, v3, v10
	s_mov_b64 s[26:27], -1
	v_mov_b32_e32 v12, s22
	v_mov_b32_e32 v11, v10
	s_and_saveexec_b64 s[24:25], vcc
	s_cbranch_execz .LBB4_12
; %bb.7:
	v_lshrrev_b32_e32 v1, 10, v1
	v_add_u32_e32 v9, 1, v1
	v_and_b32_e32 v1, 0x7ffffe, v9
	v_add_u32_e32 v11, 0x400, v10
	s_add_i32 s23, s22, 0x400
	s_mov_b32 s3, s10
	s_mov_b32 s18, s11
	v_mov_b32_e32 v3, v2
	v_mov_b32_e32 v7, v6
	s_mov_b64 s[26:27], 0
	v_mov_b32_e32 v14, v1
	v_mov_b64_e32 v[12:13], v[10:11]
	s_mov_b64 s[28:29], s[22:23]
.LBB4_8:                                ; =>This Inner Loop Header: Depth=1
	v_ashrrev_i32_e32 v11, 31, v12
	v_ashrrev_i32_e32 v15, 31, v13
	v_mul_lo_u32 v25, s18, v12
	v_mad_u64_u32 v[18:19], s[30:31], s3, v12, 0
	v_mul_lo_u32 v11, s3, v11
	v_mul_lo_u32 v24, s11, v13
	v_mad_u64_u32 v[16:17], s[30:31], s10, v13, 0
	s_ashr_i32 s35, s28, 31
	s_mov_b32 s34, s28
	v_mul_lo_u32 v15, s10, v15
	v_add3_u32 v19, v19, v11, v25
	s_ashr_i32 s31, s29, 31
	s_mov_b32 s30, s29
	v_lshl_add_u64 v[20:21], s[34:35], 3, v[4:5]
	v_add3_u32 v17, v17, v15, v24
	v_lshl_add_u64 v[18:19], v[18:19], 3, s[4:5]
	v_lshl_add_u64 v[22:23], s[30:31], 3, v[4:5]
	flat_load_dwordx2 v[24:25], v[20:21]
	v_lshl_add_u64 v[16:17], v[16:17], 3, s[4:5]
	flat_load_dwordx2 v[26:27], v[18:19]
	flat_load_dwordx2 v[28:29], v[16:17]
	;; [unrolled: 1-line block ×3, first 2 shown]
	v_add_u32_e32 v14, -2, v14
	s_addk_i32 s29, 0x800
	s_addk_i32 s28, 0x800
	v_cmp_eq_u32_e32 vcc, 0, v14
	v_add_u32_e32 v13, 0x800, v13
	v_add_u32_e32 v12, 0x800, v12
	s_or_b64 s[26:27], vcc, s[26:27]
	s_waitcnt vmcnt(0) lgkmcnt(0)
	v_mov_b32_e32 v16, v24
	v_mov_b32_e32 v19, v28
	;; [unrolled: 1-line block ×6, first 2 shown]
	v_pk_mul_f32 v[24:25], v[6:7], v[28:29]
	v_pk_mul_f32 v[26:27], v[2:3], v[28:29]
	v_pk_fma_f32 v[24:25], v[2:3], v[18:19], v[24:25] neg_lo:[0,0,1] neg_hi:[0,0,1]
	v_pk_fma_f32 v[18:19], v[6:7], v[18:19], v[26:27]
	v_pk_add_f32 v[16:17], v[16:17], v[24:25]
	v_pk_add_f32 v[18:19], v[18:19], v[30:31]
	v_mov_b32_e32 v24, v16
	v_mov_b32_e32 v25, v18
	;; [unrolled: 1-line block ×3, first 2 shown]
	flat_store_dwordx2 v[20:21], v[24:25]
	flat_store_dwordx2 v[22:23], v[18:19]
	s_andn2_b64 exec, exec, s[26:27]
	s_cbranch_execnz .LBB4_8
; %bb.9:
	s_or_b64 exec, exec, s[26:27]
	v_cmp_ne_u32_e32 vcc, v9, v1
	s_mov_b64 s[26:27], 0
                                        ; implicit-def: $vgpr12
                                        ; implicit-def: $vgpr11
	s_and_saveexec_b64 s[28:29], vcc
; %bb.10:
	v_lshlrev_b32_e32 v1, 10, v1
	v_add_u32_e32 v12, s22, v1
	s_mov_b64 s[26:27], exec
	v_add_u32_e32 v10, v10, v1
	v_add_u32_e32 v11, v0, v12
; %bb.11:
	s_or_b64 exec, exec, s[28:29]
	s_orn2_b64 s[26:27], s[26:27], exec
.LBB4_12:
	s_or_b64 exec, exec, s[24:25]
	s_andn2_b64 s[14:15], s[14:15], exec
	s_and_b64 s[22:23], s[26:27], exec
	s_or_b64 s[14:15], s[14:15], s[22:23]
.LBB4_13:
	s_or_b64 exec, exec, s[20:21]
	s_and_b64 exec, exec, s[14:15]
	s_cbranch_execz .LBB4_16
; %bb.14:
	s_lshl_b64 s[14:15], s[6:7], 3
	s_add_u32 s14, s14, s16
	s_addc_u32 s15, s15, s17
	v_ashrrev_i32_e32 v13, 31, v12
	v_lshl_add_u64 v[14:15], v[12:13], 3, s[14:15]
	v_mov_b32_e32 v9, 0
	v_lshl_add_u64 v[14:15], v[14:15], 0, v[8:9]
	v_mov_b32_e32 v7, v6
	v_mov_b32_e32 v3, v2
	v_lshl_add_u64 v[14:15], s[12:13], 0, v[14:15]
	s_mov_b64 s[14:15], 0
	s_mov_b64 s[20:21], 0x2000
.LBB4_15:                               ; =>This Inner Loop Header: Depth=1
	v_ashrrev_i32_e32 v1, 31, v10
	v_mul_lo_u32 v9, s11, v10
	v_mad_u64_u32 v[16:17], s[22:23], s10, v10, 0
	v_mul_lo_u32 v1, s10, v1
	v_add3_u32 v17, v17, v1, v9
	v_lshl_add_u64 v[16:17], v[16:17], 3, s[4:5]
	flat_load_dwordx2 v[18:19], v[16:17]
	flat_load_dwordx2 v[20:21], v[14:15]
	v_add_u32_e32 v11, 0x400, v11
	v_add_u32_e32 v12, 0x400, v12
	v_cmp_le_i32_e32 vcc, s19, v11
	v_add_u32_e32 v10, v12, v0
	s_or_b64 s[14:15], vcc, s[14:15]
	s_waitcnt vmcnt(0) lgkmcnt(0)
	v_pk_mul_f32 v[16:17], v[6:7], v[18:19] op_sel:[0,1] op_sel_hi:[1,0]
	s_nop 0
	v_pk_fma_f32 v[22:23], v[2:3], v[18:19], v[16:17] neg_lo:[0,0,1] neg_hi:[0,0,1]
	v_pk_fma_f32 v[16:17], v[2:3], v[18:19], v[16:17]
	s_nop 0
	v_mov_b32_e32 v23, v17
	v_pk_add_f32 v[16:17], v[20:21], v[22:23]
	flat_store_dwordx2 v[14:15], v[16:17]
	v_lshl_add_u64 v[14:15], v[14:15], 0, s[20:21]
	s_andn2_b64 exec, exec, s[14:15]
	s_cbranch_execnz .LBB4_15
.LBB4_16:
	s_or_b64 exec, exec, s[8:9]
	s_mov_b64 s[8:9], 0
.LBB4_17:
	s_and_b64 vcc, exec, s[8:9]
	s_cbranch_vccz .LBB4_32
; %bb.18:
	v_cmp_gt_i32_e32 vcc, s2, v0
	v_mov_b64_e32 v[10:11], 0
	v_mov_b32_e32 v1, v0
	s_and_saveexec_b64 s[8:9], vcc
	s_cbranch_execz .LBB4_30
; %bb.19:
	v_xad_u32 v3, v0, -1, s2
	s_movk_i32 s3, 0x3ff
	v_cmp_lt_u32_e32 vcc, s3, v3
	s_mov_b64 s[18:19], 0
                                        ; implicit-def: $vgpr1
                                        ; implicit-def: $vgpr10
	s_and_saveexec_b64 s[14:15], vcc
	s_xor_b64 s[14:15], exec, s[14:15]
	s_cbranch_execnz .LBB4_22
; %bb.20:
	s_or_saveexec_b64 s[14:15], s[14:15]
	v_mov_b32_e32 v12, v10
	s_xor_b64 exec, exec, s[14:15]
	s_cbranch_execnz .LBB4_25
.LBB4_21:
	s_or_b64 exec, exec, s[14:15]
	s_and_saveexec_b64 s[14:15], s[18:19]
	s_cbranch_execnz .LBB4_26
	s_branch .LBB4_29
.LBB4_22:
	v_lshrrev_b32_e32 v1, 10, v3
	v_add_u32_e32 v9, 1, v1
	v_and_b32_e32 v11, 0x7ffffe, v9
	s_mov_b32 s21, 0
	v_mov_b32_e32 v1, v0
	s_mov_b32 s3, s10
	s_mov_b32 s24, s11
	v_mov_b32_e32 v3, v2
	v_mov_b32_e32 v7, v6
	s_movk_i32 s22, 0x400
	v_mov_b32_e32 v10, v11
	s_mov_b32 s20, s21
.LBB4_23:                               ; =>This Inner Loop Header: Depth=1
	v_or_b32_e32 v25, s20, v0
	v_or_b32_e32 v23, s22, v1
	v_mad_u64_u32 v[16:17], s[26:27], s3, v25, 0
	v_mad_u64_u32 v[12:13], s[26:27], s10, v23, 0
	v_mov_b32_e32 v24, v17
	v_mov_b32_e32 v22, v13
	v_mad_u64_u32 v[24:25], s[26:27], s24, v25, v[24:25]
	v_mad_u64_u32 v[22:23], s[26:27], s11, v23, v[22:23]
	v_mov_b32_e32 v17, v24
	v_lshl_add_u64 v[14:15], s[20:21], 3, v[4:5]
	s_mov_b32 s23, s21
	v_mov_b32_e32 v13, v22
	v_lshl_add_u64 v[16:17], v[16:17], 3, s[4:5]
	v_lshl_add_u64 v[18:19], s[22:23], 3, v[4:5]
	flat_load_dwordx2 v[20:21], v[14:15]
	v_lshl_add_u64 v[12:13], v[12:13], 3, s[4:5]
	flat_load_dwordx2 v[22:23], v[16:17]
	flat_load_dwordx2 v[24:25], v[12:13]
	;; [unrolled: 1-line block ×3, first 2 shown]
	v_add_u32_e32 v10, -2, v10
	s_addk_i32 s20, 0x800
	s_add_i32 s23, s22, 0x800
	v_cmp_eq_u32_e32 vcc, 0, v10
	v_mov_b32_e32 v12, s22
	s_mov_b32 s22, s23
	s_or_b64 s[18:19], vcc, s[18:19]
	s_waitcnt vmcnt(0) lgkmcnt(0)
	v_mov_b32_e32 v16, v20
	v_mov_b32_e32 v20, v22
	;; [unrolled: 1-line block ×6, first 2 shown]
	v_pk_mul_f32 v[22:23], v[6:7], v[24:25]
	v_pk_mul_f32 v[24:25], v[2:3], v[24:25]
	v_pk_fma_f32 v[22:23], v[2:3], v[20:21], v[22:23] neg_lo:[0,0,1] neg_hi:[0,0,1]
	v_pk_fma_f32 v[20:21], v[6:7], v[20:21], v[24:25]
	v_pk_add_f32 v[16:17], v[16:17], v[22:23]
	v_pk_add_f32 v[20:21], v[20:21], v[26:27]
	v_mov_b32_e32 v22, v16
	v_mov_b32_e32 v23, v20
	;; [unrolled: 1-line block ×3, first 2 shown]
	flat_store_dwordx2 v[14:15], v[22:23]
	flat_store_dwordx2 v[18:19], v[20:21]
	s_andn2_b64 exec, exec, s[18:19]
	s_cbranch_execnz .LBB4_23
; %bb.24:
	s_or_b64 exec, exec, s[18:19]
	s_movk_i32 s3, 0x400
	v_cmp_ne_u32_e32 vcc, v9, v11
	v_lshlrev_b32_e32 v10, 10, v11
	v_add3_u32 v1, v12, v0, s3
	s_and_b64 s[18:19], vcc, exec
	s_or_saveexec_b64 s[14:15], s[14:15]
	v_mov_b32_e32 v12, v10
	s_xor_b64 exec, exec, s[14:15]
	s_cbranch_execz .LBB4_21
.LBB4_25:
	v_mov_b32_e32 v12, 0
	s_or_b64 s[18:19], s[18:19], exec
	s_or_b64 exec, exec, s[14:15]
	s_and_saveexec_b64 s[14:15], s[18:19]
	s_cbranch_execz .LBB4_29
.LBB4_26:
	s_lshl_b64 s[6:7], s[6:7], 3
	s_add_u32 s6, s6, s16
	s_addc_u32 s7, s7, s17
	v_mov_b32_e32 v9, 0
	v_lshl_add_u64 v[10:11], s[6:7], 0, v[8:9]
	v_mov_b32_e32 v13, v9
	v_lshl_add_u64 v[8:9], v[12:13], 3, v[10:11]
	v_mov_b32_e32 v7, v6
	v_mov_b32_e32 v3, v2
	v_lshl_add_u64 v[8:9], s[12:13], 0, v[8:9]
	s_mov_b64 s[6:7], 0
	s_mov_b64 s[12:13], 0x2000
.LBB4_27:                               ; =>This Inner Loop Header: Depth=1
	v_add_u32_e32 v1, v0, v12
	v_mad_u64_u32 v[10:11], s[16:17], s10, v1, 0
	v_mov_b32_e32 v14, v11
	v_mad_u64_u32 v[14:15], s[16:17], s11, v1, v[14:15]
	v_mov_b32_e32 v11, v14
	v_lshl_add_u64 v[10:11], v[10:11], 3, s[4:5]
	flat_load_dwordx2 v[14:15], v[10:11]
	flat_load_dwordx2 v[16:17], v[8:9]
	v_add_u32_e32 v12, 0x400, v12
	v_add_u32_e32 v1, v0, v12
	v_cmp_le_i32_e32 vcc, s2, v1
	s_or_b64 s[6:7], vcc, s[6:7]
	s_waitcnt vmcnt(0) lgkmcnt(0)
	v_pk_mul_f32 v[10:11], v[6:7], v[14:15] op_sel:[0,1] op_sel_hi:[1,0]
	s_nop 0
	v_pk_fma_f32 v[18:19], v[2:3], v[14:15], v[10:11] neg_lo:[0,0,1] neg_hi:[0,0,1]
	v_pk_fma_f32 v[10:11], v[2:3], v[14:15], v[10:11]
	s_nop 0
	v_mov_b32_e32 v19, v11
	v_pk_add_f32 v[10:11], v[16:17], v[18:19]
	flat_store_dwordx2 v[8:9], v[10:11]
	v_lshl_add_u64 v[8:9], v[8:9], 0, s[12:13]
	s_andn2_b64 exec, exec, s[6:7]
	s_cbranch_execnz .LBB4_27
; %bb.28:
	s_or_b64 exec, exec, s[6:7]
	v_mov_b32_e32 v10, v12
.LBB4_29:
	s_or_b64 exec, exec, s[14:15]
	v_mov_b32_e32 v11, 0
.LBB4_30:
	s_or_b64 exec, exec, s[8:9]
	v_cmp_eq_u32_e32 vcc, s2, v1
	s_and_saveexec_b64 s[2:3], vcc
	s_cbranch_execz .LBB4_32
; %bb.31:
	v_mov_b64_e32 v[0:1], s[0:1]
	flat_load_dwordx2 v[0:1], v[0:1]
	v_lshl_add_u64 v[4:5], v[10:11], 3, v[4:5]
	flat_load_dword v3, v[4:5]
	s_waitcnt vmcnt(0) lgkmcnt(0)
	v_mul_f32_e32 v1, v6, v1
	v_fma_f32 v0, v2, v0, -v1
	v_add_f32_e32 v0, v3, v0
	v_mov_b32_e32 v1, 0
	flat_store_dwordx2 v[4:5], v[0:1]
.LBB4_32:
	s_endpgm
	.section	.rodata,"a",@progbits
	.p2align	6, 0x0
	.amdhsa_kernel _ZL18rocblas_her_kernelILi1024EPKfPKPK19rocblas_complex_numIfEPKPS3_EvbiT0_T1_lllT2_llli
		.amdhsa_group_segment_fixed_size 0
		.amdhsa_private_segment_fixed_size 0
		.amdhsa_kernarg_size 84
		.amdhsa_user_sgpr_count 2
		.amdhsa_user_sgpr_dispatch_ptr 0
		.amdhsa_user_sgpr_queue_ptr 0
		.amdhsa_user_sgpr_kernarg_segment_ptr 1
		.amdhsa_user_sgpr_dispatch_id 0
		.amdhsa_user_sgpr_kernarg_preload_length 0
		.amdhsa_user_sgpr_kernarg_preload_offset 0
		.amdhsa_user_sgpr_private_segment_size 0
		.amdhsa_uses_dynamic_stack 0
		.amdhsa_enable_private_segment 0
		.amdhsa_system_sgpr_workgroup_id_x 1
		.amdhsa_system_sgpr_workgroup_id_y 0
		.amdhsa_system_sgpr_workgroup_id_z 1
		.amdhsa_system_sgpr_workgroup_info 0
		.amdhsa_system_vgpr_workitem_id 0
		.amdhsa_next_free_vgpr 32
		.amdhsa_next_free_sgpr 36
		.amdhsa_accum_offset 32
		.amdhsa_reserve_vcc 1
		.amdhsa_float_round_mode_32 0
		.amdhsa_float_round_mode_16_64 0
		.amdhsa_float_denorm_mode_32 3
		.amdhsa_float_denorm_mode_16_64 3
		.amdhsa_dx10_clamp 1
		.amdhsa_ieee_mode 1
		.amdhsa_fp16_overflow 0
		.amdhsa_tg_split 0
		.amdhsa_exception_fp_ieee_invalid_op 0
		.amdhsa_exception_fp_denorm_src 0
		.amdhsa_exception_fp_ieee_div_zero 0
		.amdhsa_exception_fp_ieee_overflow 0
		.amdhsa_exception_fp_ieee_underflow 0
		.amdhsa_exception_fp_ieee_inexact 0
		.amdhsa_exception_int_div_zero 0
	.end_amdhsa_kernel
	.section	.text._ZL18rocblas_her_kernelILi1024EPKfPKPK19rocblas_complex_numIfEPKPS3_EvbiT0_T1_lllT2_llli,"axG",@progbits,_ZL18rocblas_her_kernelILi1024EPKfPKPK19rocblas_complex_numIfEPKPS3_EvbiT0_T1_lllT2_llli,comdat
.Lfunc_end4:
	.size	_ZL18rocblas_her_kernelILi1024EPKfPKPK19rocblas_complex_numIfEPKPS3_EvbiT0_T1_lllT2_llli, .Lfunc_end4-_ZL18rocblas_her_kernelILi1024EPKfPKPK19rocblas_complex_numIfEPKPS3_EvbiT0_T1_lllT2_llli
                                        ; -- End function
	.set _ZL18rocblas_her_kernelILi1024EPKfPKPK19rocblas_complex_numIfEPKPS3_EvbiT0_T1_lllT2_llli.num_vgpr, 32
	.set _ZL18rocblas_her_kernelILi1024EPKfPKPK19rocblas_complex_numIfEPKPS3_EvbiT0_T1_lllT2_llli.num_agpr, 0
	.set _ZL18rocblas_her_kernelILi1024EPKfPKPK19rocblas_complex_numIfEPKPS3_EvbiT0_T1_lllT2_llli.numbered_sgpr, 36
	.set _ZL18rocblas_her_kernelILi1024EPKfPKPK19rocblas_complex_numIfEPKPS3_EvbiT0_T1_lllT2_llli.num_named_barrier, 0
	.set _ZL18rocblas_her_kernelILi1024EPKfPKPK19rocblas_complex_numIfEPKPS3_EvbiT0_T1_lllT2_llli.private_seg_size, 0
	.set _ZL18rocblas_her_kernelILi1024EPKfPKPK19rocblas_complex_numIfEPKPS3_EvbiT0_T1_lllT2_llli.uses_vcc, 1
	.set _ZL18rocblas_her_kernelILi1024EPKfPKPK19rocblas_complex_numIfEPKPS3_EvbiT0_T1_lllT2_llli.uses_flat_scratch, 0
	.set _ZL18rocblas_her_kernelILi1024EPKfPKPK19rocblas_complex_numIfEPKPS3_EvbiT0_T1_lllT2_llli.has_dyn_sized_stack, 0
	.set _ZL18rocblas_her_kernelILi1024EPKfPKPK19rocblas_complex_numIfEPKPS3_EvbiT0_T1_lllT2_llli.has_recursion, 0
	.set _ZL18rocblas_her_kernelILi1024EPKfPKPK19rocblas_complex_numIfEPKPS3_EvbiT0_T1_lllT2_llli.has_indirect_call, 0
	.section	.AMDGPU.csdata,"",@progbits
; Kernel info:
; codeLenInByte = 1932
; TotalNumSgprs: 42
; NumVgprs: 32
; NumAgprs: 0
; TotalNumVgprs: 32
; ScratchSize: 0
; MemoryBound: 0
; FloatMode: 240
; IeeeMode: 1
; LDSByteSize: 0 bytes/workgroup (compile time only)
; SGPRBlocks: 5
; VGPRBlocks: 3
; NumSGPRsForWavesPerEU: 42
; NumVGPRsForWavesPerEU: 32
; AccumOffset: 32
; Occupancy: 8
; WaveLimiterHint : 1
; COMPUTE_PGM_RSRC2:SCRATCH_EN: 0
; COMPUTE_PGM_RSRC2:USER_SGPR: 2
; COMPUTE_PGM_RSRC2:TRAP_HANDLER: 0
; COMPUTE_PGM_RSRC2:TGID_X_EN: 1
; COMPUTE_PGM_RSRC2:TGID_Y_EN: 0
; COMPUTE_PGM_RSRC2:TGID_Z_EN: 1
; COMPUTE_PGM_RSRC2:TIDIG_COMP_CNT: 0
; COMPUTE_PGM_RSRC3_GFX90A:ACCUM_OFFSET: 7
; COMPUTE_PGM_RSRC3_GFX90A:TG_SPLIT: 0
	.section	.text._ZL18rocblas_her_kernelILi1024EfPKPK19rocblas_complex_numIfEPKPS1_EvbiT0_T1_lllT2_llli,"axG",@progbits,_ZL18rocblas_her_kernelILi1024EfPKPK19rocblas_complex_numIfEPKPS1_EvbiT0_T1_lllT2_llli,comdat
	.globl	_ZL18rocblas_her_kernelILi1024EfPKPK19rocblas_complex_numIfEPKPS1_EvbiT0_T1_lllT2_llli ; -- Begin function _ZL18rocblas_her_kernelILi1024EfPKPK19rocblas_complex_numIfEPKPS1_EvbiT0_T1_lllT2_llli
	.p2align	8
	.type	_ZL18rocblas_her_kernelILi1024EfPKPK19rocblas_complex_numIfEPKPS1_EvbiT0_T1_lllT2_llli,@function
_ZL18rocblas_her_kernelILi1024EfPKPK19rocblas_complex_numIfEPKPS1_EvbiT0_T1_lllT2_llli: ; @_ZL18rocblas_her_kernelILi1024EfPKPK19rocblas_complex_numIfEPKPS1_EvbiT0_T1_lllT2_llli
; %bb.0:
	s_load_dwordx4 s[4:7], s[0:1], 0x0
	s_mov_b32 s13, 0
	s_waitcnt lgkmcnt(0)
	v_cmp_eq_f32_e64 s[8:9], s6, 0
	s_and_b64 vcc, exec, s[8:9]
	s_cbranch_vccnz .LBB5_32
; %bb.1:
	s_load_dwordx4 s[8:11], s[0:1], 0x30
	s_load_dwordx2 s[16:17], s[0:1], 0x40
	s_mov_b32 s12, s3
	s_and_b32 s4, s4, 1
	s_lshl_b64 s[12:13], s[12:13], 3
	s_waitcnt lgkmcnt(0)
	s_add_u32 s18, s8, s12
	s_addc_u32 s19, s9, s13
	s_load_dwordx2 s[14:15], s[18:19], 0x0
	s_load_dwordx4 s[20:23], s[0:1], 0x10
	s_load_dwordx2 s[8:9], s[0:1], 0x20
	s_lshl_b64 s[16:17], s[16:17], 3
	s_mul_hi_u32 s7, s10, s2
	s_waitcnt lgkmcnt(0)
	s_add_u32 s18, s14, s16
	s_addc_u32 s19, s15, s17
	s_add_u32 s0, s20, s12
	s_addc_u32 s1, s21, s13
	s_load_dwordx2 s[0:1], s[0:1], 0x0
	s_lshl_b64 s[12:13], s[22:23], 3
	s_mul_i32 s11, s11, s2
	s_mul_hi_u32 s20, s8, s2
	v_cmp_gt_i32_e32 vcc, s5, v0
	s_waitcnt lgkmcnt(0)
	s_add_u32 s12, s0, s12
	s_addc_u32 s13, s1, s13
	s_ashr_i32 s3, s2, 31
	s_mul_i32 s0, s10, s3
	s_mul_i32 s1, s8, s3
	s_add_i32 s0, s7, s0
	s_add_i32 s11, s0, s11
	;; [unrolled: 1-line block ×3, first 2 shown]
	s_mul_i32 s1, s9, s2
	s_add_i32 s1, s0, s1
	s_mul_i32 s0, s8, s2
	s_lshl_b64 s[0:1], s[0:1], 3
	s_add_u32 s0, s12, s0
	s_addc_u32 s1, s13, s1
	v_mov_b64_e32 v[2:3], s[0:1]
	flat_load_dwordx2 v[6:7], v[2:3]
	v_cndmask_b32_e32 v1, 0, v0, vcc
	v_mov_b32_e32 v9, 0
	v_lshlrev_b32_e32 v8, 3, v1
	s_mul_i32 s10, s10, s2
	v_lshl_add_u64 v[2:3], s[18:19], 0, v[8:9]
	v_lshl_add_u64 v[4:5], s[10:11], 3, v[2:3]
	s_cmp_eq_u32 s4, 0
	s_waitcnt vmcnt(0) lgkmcnt(0)
	v_mul_f32_e32 v2, 0, v7
	v_mul_f32_e32 v1, s6, v7
	v_fmac_f32_e32 v2, s6, v6
	v_fma_f32 v6, v6, 0, -v1
	s_mov_b64 s[6:7], -1
	s_cbranch_scc0 .LBB5_17
; %bb.2:
	v_cmp_eq_u32_e32 vcc, 0, v0
	s_and_saveexec_b64 s[6:7], vcc
	s_cbranch_execz .LBB5_4
; %bb.3:
	v_mov_b64_e32 v[10:11], s[0:1]
	flat_load_dwordx2 v[10:11], v[10:11]
	v_lshl_add_u64 v[12:13], s[2:3], 3, v[4:5]
	flat_load_dword v1, v[12:13]
	s_waitcnt vmcnt(0) lgkmcnt(0)
	v_mul_f32_e32 v3, v6, v11
	v_fma_f32 v3, v2, v10, -v3
	v_add_f32_e32 v10, v1, v3
	v_mov_b32_e32 v11, 0
	flat_store_dwordx2 v[12:13], v[10:11]
.LBB5_4:
	s_or_b64 exec, exec, s[6:7]
	s_add_i32 s22, s2, 1
	v_add_u32_e32 v10, s22, v0
	v_cmp_gt_i32_e32 vcc, s5, v10
	s_and_saveexec_b64 s[6:7], vcc
	s_cbranch_execz .LBB5_16
; %bb.5:
	v_add_u32_e32 v1, s2, v0
	v_add_u32_e32 v3, 0x401, v1
	v_max_i32_e32 v3, s5, v3
	v_sub_u32_e32 v1, v3, v1
	v_add_u32_e32 v1, -2, v1
	s_movk_i32 s3, 0x1c00
	v_cmp_gt_u32_e64 s[18:19], s3, v1
	s_movk_i32 s3, 0x1bff
	v_cmp_lt_u32_e32 vcc, s3, v1
	v_mov_b32_e32 v12, s22
	v_mov_b32_e32 v11, v10
	s_and_saveexec_b64 s[20:21], vcc
	s_cbranch_execz .LBB5_13
; %bb.6:
	v_and_b32_e32 v3, 0xfffffc00, v1
	v_add_u32_e32 v3, v10, v3
	v_cmp_ge_i32_e32 vcc, v3, v10
	s_mov_b64 s[26:27], -1
	v_mov_b32_e32 v12, s22
	v_mov_b32_e32 v11, v10
	s_and_saveexec_b64 s[24:25], vcc
	s_cbranch_execz .LBB5_12
; %bb.7:
	v_lshrrev_b32_e32 v1, 10, v1
	v_add_u32_e32 v9, 1, v1
	v_and_b32_e32 v1, 0x7ffffe, v9
	v_add_u32_e32 v11, 0x400, v10
	s_add_i32 s23, s22, 0x400
	s_mov_b32 s3, s8
	s_mov_b32 s4, s9
	v_mov_b32_e32 v3, v2
	v_mov_b32_e32 v7, v6
	s_mov_b64 s[26:27], 0
	v_mov_b32_e32 v14, v1
	v_mov_b64_e32 v[12:13], v[10:11]
	s_mov_b64 s[28:29], s[22:23]
.LBB5_8:                                ; =>This Inner Loop Header: Depth=1
	v_ashrrev_i32_e32 v11, 31, v12
	v_ashrrev_i32_e32 v15, 31, v13
	v_mul_lo_u32 v25, s9, v12
	v_mad_u64_u32 v[18:19], s[30:31], s8, v12, 0
	v_mul_lo_u32 v11, s8, v11
	v_mul_lo_u32 v24, s4, v13
	v_mad_u64_u32 v[16:17], s[30:31], s3, v13, 0
	s_ashr_i32 s35, s28, 31
	s_mov_b32 s34, s28
	v_mul_lo_u32 v15, s3, v15
	v_add3_u32 v19, v19, v11, v25
	s_ashr_i32 s31, s29, 31
	s_mov_b32 s30, s29
	v_lshl_add_u64 v[20:21], s[34:35], 3, v[4:5]
	v_add3_u32 v17, v17, v15, v24
	v_lshl_add_u64 v[18:19], v[18:19], 3, s[12:13]
	v_lshl_add_u64 v[22:23], s[30:31], 3, v[4:5]
	flat_load_dwordx2 v[24:25], v[20:21]
	v_lshl_add_u64 v[16:17], v[16:17], 3, s[12:13]
	flat_load_dwordx2 v[26:27], v[18:19]
	flat_load_dwordx2 v[28:29], v[16:17]
	;; [unrolled: 1-line block ×3, first 2 shown]
	v_add_u32_e32 v14, -2, v14
	s_addk_i32 s29, 0x800
	s_addk_i32 s28, 0x800
	v_cmp_eq_u32_e32 vcc, 0, v14
	v_add_u32_e32 v13, 0x800, v13
	v_add_u32_e32 v12, 0x800, v12
	s_or_b64 s[26:27], vcc, s[26:27]
	s_waitcnt vmcnt(0) lgkmcnt(0)
	v_mov_b32_e32 v16, v24
	v_mov_b32_e32 v19, v28
	v_mov_b32_e32 v28, v27
	v_mov_b32_e32 v17, v30
	v_mov_b32_e32 v30, v25
	v_mov_b32_e32 v18, v26
	v_pk_mul_f32 v[24:25], v[6:7], v[28:29]
	v_pk_mul_f32 v[26:27], v[2:3], v[28:29]
	v_pk_fma_f32 v[24:25], v[2:3], v[18:19], v[24:25] neg_lo:[0,0,1] neg_hi:[0,0,1]
	v_pk_fma_f32 v[18:19], v[6:7], v[18:19], v[26:27]
	v_pk_add_f32 v[16:17], v[16:17], v[24:25]
	v_pk_add_f32 v[18:19], v[18:19], v[30:31]
	v_mov_b32_e32 v24, v16
	v_mov_b32_e32 v25, v18
	v_mov_b32_e32 v18, v17
	flat_store_dwordx2 v[20:21], v[24:25]
	flat_store_dwordx2 v[22:23], v[18:19]
	s_andn2_b64 exec, exec, s[26:27]
	s_cbranch_execnz .LBB5_8
; %bb.9:
	s_or_b64 exec, exec, s[26:27]
	v_cmp_ne_u32_e32 vcc, v9, v1
	s_mov_b64 s[26:27], 0
                                        ; implicit-def: $vgpr12
                                        ; implicit-def: $vgpr11
	s_and_saveexec_b64 s[28:29], vcc
; %bb.10:
	v_lshlrev_b32_e32 v1, 10, v1
	v_add_u32_e32 v12, s22, v1
	s_mov_b64 s[26:27], exec
	v_add_u32_e32 v10, v10, v1
	v_add_u32_e32 v11, v0, v12
; %bb.11:
	s_or_b64 exec, exec, s[28:29]
	s_orn2_b64 s[26:27], s[26:27], exec
.LBB5_12:
	s_or_b64 exec, exec, s[24:25]
	s_andn2_b64 s[18:19], s[18:19], exec
	s_and_b64 s[22:23], s[26:27], exec
	s_or_b64 s[18:19], s[18:19], s[22:23]
.LBB5_13:
	s_or_b64 exec, exec, s[20:21]
	s_and_b64 exec, exec, s[18:19]
	s_cbranch_execz .LBB5_16
; %bb.14:
	s_lshl_b64 s[18:19], s[10:11], 3
	s_add_u32 s18, s18, s16
	s_addc_u32 s19, s19, s17
	v_ashrrev_i32_e32 v13, 31, v12
	v_lshl_add_u64 v[14:15], v[12:13], 3, s[18:19]
	v_mov_b32_e32 v9, 0
	v_lshl_add_u64 v[14:15], v[14:15], 0, v[8:9]
	v_mov_b32_e32 v7, v6
	v_mov_b32_e32 v3, v2
	v_lshl_add_u64 v[14:15], s[14:15], 0, v[14:15]
	s_mov_b64 s[18:19], 0
	s_mov_b64 s[20:21], 0x2000
.LBB5_15:                               ; =>This Inner Loop Header: Depth=1
	v_ashrrev_i32_e32 v1, 31, v10
	v_mul_lo_u32 v9, s9, v10
	v_mad_u64_u32 v[16:17], s[22:23], s8, v10, 0
	v_mul_lo_u32 v1, s8, v1
	v_add3_u32 v17, v17, v1, v9
	v_lshl_add_u64 v[16:17], v[16:17], 3, s[12:13]
	flat_load_dwordx2 v[18:19], v[16:17]
	flat_load_dwordx2 v[20:21], v[14:15]
	v_add_u32_e32 v11, 0x400, v11
	v_add_u32_e32 v12, 0x400, v12
	v_cmp_le_i32_e32 vcc, s5, v11
	v_add_u32_e32 v10, v12, v0
	s_or_b64 s[18:19], vcc, s[18:19]
	s_waitcnt vmcnt(0) lgkmcnt(0)
	v_pk_mul_f32 v[16:17], v[6:7], v[18:19] op_sel:[0,1] op_sel_hi:[1,0]
	s_nop 0
	v_pk_fma_f32 v[22:23], v[2:3], v[18:19], v[16:17] neg_lo:[0,0,1] neg_hi:[0,0,1]
	v_pk_fma_f32 v[16:17], v[2:3], v[18:19], v[16:17]
	s_nop 0
	v_mov_b32_e32 v23, v17
	v_pk_add_f32 v[16:17], v[20:21], v[22:23]
	flat_store_dwordx2 v[14:15], v[16:17]
	v_lshl_add_u64 v[14:15], v[14:15], 0, s[20:21]
	s_andn2_b64 exec, exec, s[18:19]
	s_cbranch_execnz .LBB5_15
.LBB5_16:
	s_or_b64 exec, exec, s[6:7]
	s_mov_b64 s[6:7], 0
.LBB5_17:
	s_and_b64 vcc, exec, s[6:7]
	s_cbranch_vccz .LBB5_32
; %bb.18:
	v_cmp_gt_i32_e32 vcc, s2, v0
	v_mov_b64_e32 v[10:11], 0
	v_mov_b32_e32 v1, v0
	s_and_saveexec_b64 s[4:5], vcc
	s_cbranch_execz .LBB5_30
; %bb.19:
	v_xad_u32 v3, v0, -1, s2
	s_movk_i32 s3, 0x3ff
	v_cmp_lt_u32_e32 vcc, s3, v3
	s_mov_b64 s[18:19], 0
                                        ; implicit-def: $vgpr1
                                        ; implicit-def: $vgpr10
	s_and_saveexec_b64 s[6:7], vcc
	s_xor_b64 s[6:7], exec, s[6:7]
	s_cbranch_execnz .LBB5_22
; %bb.20:
	s_or_saveexec_b64 s[6:7], s[6:7]
	v_mov_b32_e32 v12, v10
	s_xor_b64 exec, exec, s[6:7]
	s_cbranch_execnz .LBB5_25
.LBB5_21:
	s_or_b64 exec, exec, s[6:7]
	s_and_saveexec_b64 s[6:7], s[18:19]
	s_cbranch_execnz .LBB5_26
	s_branch .LBB5_29
.LBB5_22:
	v_lshrrev_b32_e32 v1, 10, v3
	v_add_u32_e32 v9, 1, v1
	v_and_b32_e32 v11, 0x7ffffe, v9
	s_mov_b32 s21, 0
	v_mov_b32_e32 v1, v0
	s_mov_b32 s3, s8
	s_mov_b32 s24, s9
	v_mov_b32_e32 v3, v2
	v_mov_b32_e32 v7, v6
	s_movk_i32 s22, 0x400
	v_mov_b32_e32 v10, v11
	s_mov_b32 s20, s21
.LBB5_23:                               ; =>This Inner Loop Header: Depth=1
	v_or_b32_e32 v25, s20, v0
	v_or_b32_e32 v23, s22, v1
	v_mad_u64_u32 v[16:17], s[26:27], s8, v25, 0
	v_mad_u64_u32 v[12:13], s[26:27], s3, v23, 0
	v_mov_b32_e32 v24, v17
	v_mov_b32_e32 v22, v13
	v_mad_u64_u32 v[24:25], s[26:27], s9, v25, v[24:25]
	v_mad_u64_u32 v[22:23], s[26:27], s24, v23, v[22:23]
	v_mov_b32_e32 v17, v24
	v_lshl_add_u64 v[14:15], s[20:21], 3, v[4:5]
	s_mov_b32 s23, s21
	v_mov_b32_e32 v13, v22
	v_lshl_add_u64 v[16:17], v[16:17], 3, s[12:13]
	v_lshl_add_u64 v[18:19], s[22:23], 3, v[4:5]
	flat_load_dwordx2 v[20:21], v[14:15]
	v_lshl_add_u64 v[12:13], v[12:13], 3, s[12:13]
	flat_load_dwordx2 v[22:23], v[16:17]
	flat_load_dwordx2 v[24:25], v[12:13]
	;; [unrolled: 1-line block ×3, first 2 shown]
	v_add_u32_e32 v10, -2, v10
	s_addk_i32 s20, 0x800
	s_add_i32 s23, s22, 0x800
	v_cmp_eq_u32_e32 vcc, 0, v10
	v_mov_b32_e32 v12, s22
	s_mov_b32 s22, s23
	s_or_b64 s[18:19], vcc, s[18:19]
	s_waitcnt vmcnt(0) lgkmcnt(0)
	v_mov_b32_e32 v16, v20
	v_mov_b32_e32 v20, v22
	;; [unrolled: 1-line block ×6, first 2 shown]
	v_pk_mul_f32 v[22:23], v[6:7], v[24:25]
	v_pk_mul_f32 v[24:25], v[2:3], v[24:25]
	v_pk_fma_f32 v[22:23], v[2:3], v[20:21], v[22:23] neg_lo:[0,0,1] neg_hi:[0,0,1]
	v_pk_fma_f32 v[20:21], v[6:7], v[20:21], v[24:25]
	v_pk_add_f32 v[16:17], v[16:17], v[22:23]
	v_pk_add_f32 v[20:21], v[20:21], v[26:27]
	v_mov_b32_e32 v22, v16
	v_mov_b32_e32 v23, v20
	;; [unrolled: 1-line block ×3, first 2 shown]
	flat_store_dwordx2 v[14:15], v[22:23]
	flat_store_dwordx2 v[18:19], v[20:21]
	s_andn2_b64 exec, exec, s[18:19]
	s_cbranch_execnz .LBB5_23
; %bb.24:
	s_or_b64 exec, exec, s[18:19]
	s_movk_i32 s3, 0x400
	v_cmp_ne_u32_e32 vcc, v9, v11
	v_lshlrev_b32_e32 v10, 10, v11
	v_add3_u32 v1, v12, v0, s3
	s_and_b64 s[18:19], vcc, exec
	s_or_saveexec_b64 s[6:7], s[6:7]
	v_mov_b32_e32 v12, v10
	s_xor_b64 exec, exec, s[6:7]
	s_cbranch_execz .LBB5_21
.LBB5_25:
	v_mov_b32_e32 v12, 0
	s_or_b64 s[18:19], s[18:19], exec
	s_or_b64 exec, exec, s[6:7]
	s_and_saveexec_b64 s[6:7], s[18:19]
	s_cbranch_execz .LBB5_29
.LBB5_26:
	s_lshl_b64 s[10:11], s[10:11], 3
	s_add_u32 s10, s10, s16
	s_addc_u32 s11, s11, s17
	v_mov_b32_e32 v9, 0
	v_lshl_add_u64 v[10:11], s[10:11], 0, v[8:9]
	v_mov_b32_e32 v13, v9
	v_lshl_add_u64 v[8:9], v[12:13], 3, v[10:11]
	v_mov_b32_e32 v7, v6
	v_mov_b32_e32 v3, v2
	v_lshl_add_u64 v[8:9], s[14:15], 0, v[8:9]
	s_mov_b64 s[10:11], 0
	s_mov_b64 s[14:15], 0x2000
.LBB5_27:                               ; =>This Inner Loop Header: Depth=1
	v_add_u32_e32 v1, v0, v12
	v_mad_u64_u32 v[10:11], s[16:17], s8, v1, 0
	v_mov_b32_e32 v14, v11
	v_mad_u64_u32 v[14:15], s[16:17], s9, v1, v[14:15]
	v_mov_b32_e32 v11, v14
	v_lshl_add_u64 v[10:11], v[10:11], 3, s[12:13]
	flat_load_dwordx2 v[14:15], v[10:11]
	flat_load_dwordx2 v[16:17], v[8:9]
	v_add_u32_e32 v12, 0x400, v12
	v_add_u32_e32 v1, v0, v12
	v_cmp_le_i32_e32 vcc, s2, v1
	s_or_b64 s[10:11], vcc, s[10:11]
	s_waitcnt vmcnt(0) lgkmcnt(0)
	v_pk_mul_f32 v[10:11], v[6:7], v[14:15] op_sel:[0,1] op_sel_hi:[1,0]
	s_nop 0
	v_pk_fma_f32 v[18:19], v[2:3], v[14:15], v[10:11] neg_lo:[0,0,1] neg_hi:[0,0,1]
	v_pk_fma_f32 v[10:11], v[2:3], v[14:15], v[10:11]
	s_nop 0
	v_mov_b32_e32 v19, v11
	v_pk_add_f32 v[10:11], v[16:17], v[18:19]
	flat_store_dwordx2 v[8:9], v[10:11]
	v_lshl_add_u64 v[8:9], v[8:9], 0, s[14:15]
	s_andn2_b64 exec, exec, s[10:11]
	s_cbranch_execnz .LBB5_27
; %bb.28:
	s_or_b64 exec, exec, s[10:11]
	v_mov_b32_e32 v10, v12
.LBB5_29:
	s_or_b64 exec, exec, s[6:7]
	v_mov_b32_e32 v11, 0
.LBB5_30:
	s_or_b64 exec, exec, s[4:5]
	v_cmp_eq_u32_e32 vcc, s2, v1
	s_and_saveexec_b64 s[2:3], vcc
	s_cbranch_execz .LBB5_32
; %bb.31:
	v_mov_b64_e32 v[0:1], s[0:1]
	flat_load_dwordx2 v[0:1], v[0:1]
	v_lshl_add_u64 v[4:5], v[10:11], 3, v[4:5]
	flat_load_dword v3, v[4:5]
	s_waitcnt vmcnt(0) lgkmcnt(0)
	v_mul_f32_e32 v1, v6, v1
	v_fma_f32 v0, v2, v0, -v1
	v_add_f32_e32 v0, v3, v0
	v_mov_b32_e32 v1, 0
	flat_store_dwordx2 v[4:5], v[0:1]
.LBB5_32:
	s_endpgm
	.section	.rodata,"a",@progbits
	.p2align	6, 0x0
	.amdhsa_kernel _ZL18rocblas_her_kernelILi1024EfPKPK19rocblas_complex_numIfEPKPS1_EvbiT0_T1_lllT2_llli
		.amdhsa_group_segment_fixed_size 0
		.amdhsa_private_segment_fixed_size 0
		.amdhsa_kernarg_size 84
		.amdhsa_user_sgpr_count 2
		.amdhsa_user_sgpr_dispatch_ptr 0
		.amdhsa_user_sgpr_queue_ptr 0
		.amdhsa_user_sgpr_kernarg_segment_ptr 1
		.amdhsa_user_sgpr_dispatch_id 0
		.amdhsa_user_sgpr_kernarg_preload_length 0
		.amdhsa_user_sgpr_kernarg_preload_offset 0
		.amdhsa_user_sgpr_private_segment_size 0
		.amdhsa_uses_dynamic_stack 0
		.amdhsa_enable_private_segment 0
		.amdhsa_system_sgpr_workgroup_id_x 1
		.amdhsa_system_sgpr_workgroup_id_y 0
		.amdhsa_system_sgpr_workgroup_id_z 1
		.amdhsa_system_sgpr_workgroup_info 0
		.amdhsa_system_vgpr_workitem_id 0
		.amdhsa_next_free_vgpr 32
		.amdhsa_next_free_sgpr 36
		.amdhsa_accum_offset 32
		.amdhsa_reserve_vcc 1
		.amdhsa_float_round_mode_32 0
		.amdhsa_float_round_mode_16_64 0
		.amdhsa_float_denorm_mode_32 3
		.amdhsa_float_denorm_mode_16_64 3
		.amdhsa_dx10_clamp 1
		.amdhsa_ieee_mode 1
		.amdhsa_fp16_overflow 0
		.amdhsa_tg_split 0
		.amdhsa_exception_fp_ieee_invalid_op 0
		.amdhsa_exception_fp_denorm_src 0
		.amdhsa_exception_fp_ieee_div_zero 0
		.amdhsa_exception_fp_ieee_overflow 0
		.amdhsa_exception_fp_ieee_underflow 0
		.amdhsa_exception_fp_ieee_inexact 0
		.amdhsa_exception_int_div_zero 0
	.end_amdhsa_kernel
	.section	.text._ZL18rocblas_her_kernelILi1024EfPKPK19rocblas_complex_numIfEPKPS1_EvbiT0_T1_lllT2_llli,"axG",@progbits,_ZL18rocblas_her_kernelILi1024EfPKPK19rocblas_complex_numIfEPKPS1_EvbiT0_T1_lllT2_llli,comdat
.Lfunc_end5:
	.size	_ZL18rocblas_her_kernelILi1024EfPKPK19rocblas_complex_numIfEPKPS1_EvbiT0_T1_lllT2_llli, .Lfunc_end5-_ZL18rocblas_her_kernelILi1024EfPKPK19rocblas_complex_numIfEPKPS1_EvbiT0_T1_lllT2_llli
                                        ; -- End function
	.set _ZL18rocblas_her_kernelILi1024EfPKPK19rocblas_complex_numIfEPKPS1_EvbiT0_T1_lllT2_llli.num_vgpr, 32
	.set _ZL18rocblas_her_kernelILi1024EfPKPK19rocblas_complex_numIfEPKPS1_EvbiT0_T1_lllT2_llli.num_agpr, 0
	.set _ZL18rocblas_her_kernelILi1024EfPKPK19rocblas_complex_numIfEPKPS1_EvbiT0_T1_lllT2_llli.numbered_sgpr, 36
	.set _ZL18rocblas_her_kernelILi1024EfPKPK19rocblas_complex_numIfEPKPS1_EvbiT0_T1_lllT2_llli.num_named_barrier, 0
	.set _ZL18rocblas_her_kernelILi1024EfPKPK19rocblas_complex_numIfEPKPS1_EvbiT0_T1_lllT2_llli.private_seg_size, 0
	.set _ZL18rocblas_her_kernelILi1024EfPKPK19rocblas_complex_numIfEPKPS1_EvbiT0_T1_lllT2_llli.uses_vcc, 1
	.set _ZL18rocblas_her_kernelILi1024EfPKPK19rocblas_complex_numIfEPKPS1_EvbiT0_T1_lllT2_llli.uses_flat_scratch, 0
	.set _ZL18rocblas_her_kernelILi1024EfPKPK19rocblas_complex_numIfEPKPS1_EvbiT0_T1_lllT2_llli.has_dyn_sized_stack, 0
	.set _ZL18rocblas_her_kernelILi1024EfPKPK19rocblas_complex_numIfEPKPS1_EvbiT0_T1_lllT2_llli.has_recursion, 0
	.set _ZL18rocblas_her_kernelILi1024EfPKPK19rocblas_complex_numIfEPKPS1_EvbiT0_T1_lllT2_llli.has_indirect_call, 0
	.section	.AMDGPU.csdata,"",@progbits
; Kernel info:
; codeLenInByte = 1928
; TotalNumSgprs: 42
; NumVgprs: 32
; NumAgprs: 0
; TotalNumVgprs: 32
; ScratchSize: 0
; MemoryBound: 0
; FloatMode: 240
; IeeeMode: 1
; LDSByteSize: 0 bytes/workgroup (compile time only)
; SGPRBlocks: 5
; VGPRBlocks: 3
; NumSGPRsForWavesPerEU: 42
; NumVGPRsForWavesPerEU: 32
; AccumOffset: 32
; Occupancy: 8
; WaveLimiterHint : 1
; COMPUTE_PGM_RSRC2:SCRATCH_EN: 0
; COMPUTE_PGM_RSRC2:USER_SGPR: 2
; COMPUTE_PGM_RSRC2:TRAP_HANDLER: 0
; COMPUTE_PGM_RSRC2:TGID_X_EN: 1
; COMPUTE_PGM_RSRC2:TGID_Y_EN: 0
; COMPUTE_PGM_RSRC2:TGID_Z_EN: 1
; COMPUTE_PGM_RSRC2:TIDIG_COMP_CNT: 0
; COMPUTE_PGM_RSRC3_GFX90A:ACCUM_OFFSET: 7
; COMPUTE_PGM_RSRC3_GFX90A:TG_SPLIT: 0
	.section	.text._ZL18rocblas_her_kernelILi1024EPKdPKPK19rocblas_complex_numIdEPKPS3_EvbiT0_T1_lllT2_llli,"axG",@progbits,_ZL18rocblas_her_kernelILi1024EPKdPKPK19rocblas_complex_numIdEPKPS3_EvbiT0_T1_lllT2_llli,comdat
	.globl	_ZL18rocblas_her_kernelILi1024EPKdPKPK19rocblas_complex_numIdEPKPS3_EvbiT0_T1_lllT2_llli ; -- Begin function _ZL18rocblas_her_kernelILi1024EPKdPKPK19rocblas_complex_numIdEPKPS3_EvbiT0_T1_lllT2_llli
	.p2align	8
	.type	_ZL18rocblas_her_kernelILi1024EPKdPKPK19rocblas_complex_numIdEPKPS3_EvbiT0_T1_lllT2_llli,@function
_ZL18rocblas_her_kernelILi1024EPKdPKPK19rocblas_complex_numIdEPKPS3_EvbiT0_T1_lllT2_llli: ; @_ZL18rocblas_her_kernelILi1024EPKdPKPK19rocblas_complex_numIdEPKPS3_EvbiT0_T1_lllT2_llli
; %bb.0:
	s_load_dwordx8 s[4:11], s[0:1], 0x8
	s_waitcnt lgkmcnt(0)
	s_load_dwordx2 s[18:19], s[4:5], 0x0
	s_waitcnt lgkmcnt(0)
	v_cmp_eq_f64_e64 s[4:5], s[18:19], 0
	s_and_b64 vcc, exec, s[4:5]
	s_cbranch_vccnz .LBB6_15
; %bb.1:
	s_load_dwordx2 s[4:5], s[0:1], 0x0
	s_load_dwordx4 s[12:15], s[0:1], 0x30
	s_load_dwordx2 s[20:21], s[0:1], 0x40
	s_mov_b32 s16, s3
	s_mov_b32 s17, 0
	s_lshl_b64 s[0:1], s[16:17], 3
	s_waitcnt lgkmcnt(0)
	s_and_b32 s4, s4, 1
	s_add_u32 s12, s12, s0
	s_addc_u32 s13, s13, s1
	s_load_dwordx2 s[12:13], s[12:13], 0x0
	s_lshl_b64 s[16:17], s[20:21], 4
	s_mul_hi_u32 s21, s14, s2
	s_mul_hi_u32 s20, s10, s2
	s_mul_i32 s15, s15, s2
	s_waitcnt lgkmcnt(0)
	s_add_u32 s22, s12, s16
	s_addc_u32 s23, s13, s17
	s_add_u32 s0, s6, s0
	s_addc_u32 s1, s7, s1
	s_load_dwordx2 s[0:1], s[0:1], 0x0
	s_lshl_b64 s[6:7], s[8:9], 4
	v_cmp_gt_i32_e32 vcc, s5, v0
	v_mov_b32_e32 v13, 0
	s_waitcnt lgkmcnt(0)
	s_add_u32 s8, s0, s6
	s_addc_u32 s9, s1, s7
	s_ashr_i32 s3, s2, 31
	s_mul_i32 s24, s14, s3
	s_mul_i32 s25, s10, s3
	s_add_i32 s21, s21, s24
	s_add_i32 s20, s20, s25
	;; [unrolled: 1-line block ×3, first 2 shown]
	s_mul_i32 s15, s11, s2
	s_add_i32 s25, s20, s15
	s_mul_i32 s24, s10, s2
	s_lshl_b64 s[24:25], s[24:25], 4
	s_add_u32 s24, s8, s24
	s_addc_u32 s25, s9, s25
	v_mov_b64_e32 v[2:3], s[24:25]
	flat_load_dwordx4 v[2:5], v[2:3]
	v_cndmask_b32_e32 v1, 0, v0, vcc
	v_lshlrev_b32_e32 v12, 4, v1
	s_mul_i32 s20, s14, s2
	v_lshl_add_u64 v[6:7], s[22:23], 0, v[12:13]
	v_lshl_add_u64 v[6:7], s[20:21], 4, v[6:7]
	s_cmp_eq_u32 s4, 0
	s_mov_b64 s[14:15], -1
	s_waitcnt vmcnt(0) lgkmcnt(0)
	v_mul_f64 v[8:9], v[4:5], 0
	v_mul_f64 v[10:11], s[18:19], v[4:5]
	v_fmac_f64_e32 v[8:9], s[18:19], v[2:3]
	v_fma_f64 v[10:11], v[2:3], 0, -v[10:11]
	s_cbranch_scc0 .LBB6_8
; %bb.2:
	v_cmp_eq_u32_e32 vcc, 0, v0
	s_and_saveexec_b64 s[14:15], vcc
	s_cbranch_execz .LBB6_4
; %bb.3:
	v_lshl_add_u64 v[18:19], s[2:3], 4, v[6:7]
	flat_load_dwordx2 v[14:15], v[18:19]
	v_mul_f64 v[20:21], v[4:5], v[10:11]
	v_mov_b32_e32 v16, 0
	v_fma_f64 v[20:21], v[2:3], v[8:9], -v[20:21]
	v_mov_b32_e32 v17, v16
	s_waitcnt vmcnt(0) lgkmcnt(0)
	v_add_f64 v[14:15], v[20:21], v[14:15]
	flat_store_dwordx4 v[18:19], v[14:17]
.LBB6_4:
	s_or_b64 exec, exec, s[14:15]
	s_add_i32 s18, s2, 1
	v_add_u32_e32 v1, s18, v0
	v_cmp_gt_i32_e32 vcc, s5, v1
	s_and_saveexec_b64 s[14:15], vcc
	s_cbranch_execz .LBB6_7
; %bb.5:
	s_lshl_b64 s[20:21], s[20:21], 4
	s_add_u32 s3, s20, s16
	s_addc_u32 s4, s21, s17
	s_ashr_i32 s19, s18, 31
	s_lshl_b64 s[16:17], s[18:19], 4
	s_add_u32 s3, s3, s16
	s_addc_u32 s4, s4, s17
	s_add_u32 s12, s12, s3
	v_mov_b32_e32 v13, 0
	s_addc_u32 s13, s13, s4
	v_lshl_add_u64 v[12:13], s[12:13], 0, v[12:13]
	s_mov_b64 s[12:13], 0
	s_mov_b64 s[16:17], 0x4000
.LBB6_6:                                ; =>This Inner Loop Header: Depth=1
	v_ashrrev_i32_e32 v16, 31, v1
	v_mul_lo_u32 v17, s11, v1
	v_mad_u64_u32 v[14:15], s[18:19], s10, v1, 0
	v_mul_lo_u32 v16, s10, v16
	v_add3_u32 v15, v15, v16, v17
	v_lshl_add_u64 v[22:23], v[14:15], 4, s[8:9]
	flat_load_dwordx4 v[14:17], v[22:23]
	flat_load_dwordx4 v[18:21], v[12:13]
	v_add_u32_e32 v1, 0x400, v1
	v_cmp_le_i32_e32 vcc, s5, v1
	s_or_b64 s[12:13], vcc, s[12:13]
	s_waitcnt vmcnt(0) lgkmcnt(0)
	v_mul_f64 v[22:23], v[10:11], v[16:17]
	v_mul_f64 v[16:17], v[8:9], v[16:17]
	v_fma_f64 v[22:23], v[8:9], v[14:15], -v[22:23]
	v_fmac_f64_e32 v[16:17], v[10:11], v[14:15]
	v_add_f64 v[14:15], v[18:19], v[22:23]
	v_add_f64 v[16:17], v[16:17], v[20:21]
	flat_store_dwordx4 v[12:13], v[14:17]
	v_lshl_add_u64 v[12:13], v[12:13], 0, s[16:17]
	s_andn2_b64 exec, exec, s[12:13]
	s_cbranch_execnz .LBB6_6
.LBB6_7:
	s_or_b64 exec, exec, s[14:15]
	s_mov_b64 s[14:15], 0
.LBB6_8:
	s_and_b64 vcc, exec, s[14:15]
	s_cbranch_vccz .LBB6_15
; %bb.9:
	v_cmp_gt_i32_e32 vcc, s2, v0
	v_mov_b64_e32 v[16:17], 0
	v_mov_b32_e32 v1, v0
	s_and_saveexec_b64 s[4:5], vcc
	s_cbranch_execz .LBB6_13
; %bb.10:
	v_mad_u64_u32 v[12:13], s[8:9], s10, v0, 0
	v_mov_b32_e32 v14, v13
	v_mad_u64_u32 v[14:15], s[8:9], s11, v0, v[14:15]
	s_add_u32 s0, s0, s6
	v_mov_b32_e32 v13, v14
	s_addc_u32 s1, s1, s7
	v_lshl_add_u64 v[12:13], v[12:13], 4, s[0:1]
	s_lshl_b64 s[0:1], s[10:11], 14
	s_mov_b32 s3, 0
	s_mov_b64 s[6:7], 0
	s_mov_b64 s[8:9], 0x4000
	v_mov_b64_e32 v[14:15], v[6:7]
.LBB6_11:                               ; =>This Inner Loop Header: Depth=1
	flat_load_dwordx4 v[18:21], v[12:13]
	flat_load_dwordx4 v[22:25], v[14:15]
	s_addk_i32 s3, 0x400
	v_add_u32_e32 v1, s3, v0
	v_cmp_le_i32_e32 vcc, s2, v1
	v_lshl_add_u64 v[12:13], v[12:13], 0, s[0:1]
	v_mov_b32_e32 v16, s3
	s_or_b64 s[6:7], vcc, s[6:7]
	s_waitcnt vmcnt(0) lgkmcnt(0)
	v_mul_f64 v[26:27], v[10:11], v[20:21]
	v_mul_f64 v[20:21], v[8:9], v[20:21]
	v_fma_f64 v[26:27], v[8:9], v[18:19], -v[26:27]
	v_fmac_f64_e32 v[20:21], v[10:11], v[18:19]
	v_add_f64 v[18:19], v[22:23], v[26:27]
	v_add_f64 v[20:21], v[20:21], v[24:25]
	flat_store_dwordx4 v[14:15], v[18:21]
	v_lshl_add_u64 v[14:15], v[14:15], 0, s[8:9]
	s_andn2_b64 exec, exec, s[6:7]
	s_cbranch_execnz .LBB6_11
; %bb.12:
	s_or_b64 exec, exec, s[6:7]
	v_mov_b32_e32 v17, 0
.LBB6_13:
	s_or_b64 exec, exec, s[4:5]
	v_cmp_eq_u32_e32 vcc, s2, v1
	s_and_saveexec_b64 s[0:1], vcc
	s_cbranch_execz .LBB6_15
; %bb.14:
	v_lshl_add_u64 v[0:1], v[16:17], 4, v[6:7]
	flat_load_dwordx2 v[6:7], v[0:1]
	v_mul_f64 v[10:11], v[4:5], v[10:11]
	v_mov_b32_e32 v4, 0
	v_fma_f64 v[2:3], v[2:3], v[8:9], -v[10:11]
	v_mov_b32_e32 v5, v4
	s_waitcnt vmcnt(0) lgkmcnt(0)
	v_add_f64 v[2:3], v[2:3], v[6:7]
	flat_store_dwordx4 v[0:1], v[2:5]
.LBB6_15:
	s_endpgm
	.section	.rodata,"a",@progbits
	.p2align	6, 0x0
	.amdhsa_kernel _ZL18rocblas_her_kernelILi1024EPKdPKPK19rocblas_complex_numIdEPKPS3_EvbiT0_T1_lllT2_llli
		.amdhsa_group_segment_fixed_size 0
		.amdhsa_private_segment_fixed_size 0
		.amdhsa_kernarg_size 84
		.amdhsa_user_sgpr_count 2
		.amdhsa_user_sgpr_dispatch_ptr 0
		.amdhsa_user_sgpr_queue_ptr 0
		.amdhsa_user_sgpr_kernarg_segment_ptr 1
		.amdhsa_user_sgpr_dispatch_id 0
		.amdhsa_user_sgpr_kernarg_preload_length 0
		.amdhsa_user_sgpr_kernarg_preload_offset 0
		.amdhsa_user_sgpr_private_segment_size 0
		.amdhsa_uses_dynamic_stack 0
		.amdhsa_enable_private_segment 0
		.amdhsa_system_sgpr_workgroup_id_x 1
		.amdhsa_system_sgpr_workgroup_id_y 0
		.amdhsa_system_sgpr_workgroup_id_z 1
		.amdhsa_system_sgpr_workgroup_info 0
		.amdhsa_system_vgpr_workitem_id 0
		.amdhsa_next_free_vgpr 28
		.amdhsa_next_free_sgpr 26
		.amdhsa_accum_offset 28
		.amdhsa_reserve_vcc 1
		.amdhsa_float_round_mode_32 0
		.amdhsa_float_round_mode_16_64 0
		.amdhsa_float_denorm_mode_32 3
		.amdhsa_float_denorm_mode_16_64 3
		.amdhsa_dx10_clamp 1
		.amdhsa_ieee_mode 1
		.amdhsa_fp16_overflow 0
		.amdhsa_tg_split 0
		.amdhsa_exception_fp_ieee_invalid_op 0
		.amdhsa_exception_fp_denorm_src 0
		.amdhsa_exception_fp_ieee_div_zero 0
		.amdhsa_exception_fp_ieee_overflow 0
		.amdhsa_exception_fp_ieee_underflow 0
		.amdhsa_exception_fp_ieee_inexact 0
		.amdhsa_exception_int_div_zero 0
	.end_amdhsa_kernel
	.section	.text._ZL18rocblas_her_kernelILi1024EPKdPKPK19rocblas_complex_numIdEPKPS3_EvbiT0_T1_lllT2_llli,"axG",@progbits,_ZL18rocblas_her_kernelILi1024EPKdPKPK19rocblas_complex_numIdEPKPS3_EvbiT0_T1_lllT2_llli,comdat
.Lfunc_end6:
	.size	_ZL18rocblas_her_kernelILi1024EPKdPKPK19rocblas_complex_numIdEPKPS3_EvbiT0_T1_lllT2_llli, .Lfunc_end6-_ZL18rocblas_her_kernelILi1024EPKdPKPK19rocblas_complex_numIdEPKPS3_EvbiT0_T1_lllT2_llli
                                        ; -- End function
	.set _ZL18rocblas_her_kernelILi1024EPKdPKPK19rocblas_complex_numIdEPKPS3_EvbiT0_T1_lllT2_llli.num_vgpr, 28
	.set _ZL18rocblas_her_kernelILi1024EPKdPKPK19rocblas_complex_numIdEPKPS3_EvbiT0_T1_lllT2_llli.num_agpr, 0
	.set _ZL18rocblas_her_kernelILi1024EPKdPKPK19rocblas_complex_numIdEPKPS3_EvbiT0_T1_lllT2_llli.numbered_sgpr, 26
	.set _ZL18rocblas_her_kernelILi1024EPKdPKPK19rocblas_complex_numIdEPKPS3_EvbiT0_T1_lllT2_llli.num_named_barrier, 0
	.set _ZL18rocblas_her_kernelILi1024EPKdPKPK19rocblas_complex_numIdEPKPS3_EvbiT0_T1_lllT2_llli.private_seg_size, 0
	.set _ZL18rocblas_her_kernelILi1024EPKdPKPK19rocblas_complex_numIdEPKPS3_EvbiT0_T1_lllT2_llli.uses_vcc, 1
	.set _ZL18rocblas_her_kernelILi1024EPKdPKPK19rocblas_complex_numIdEPKPS3_EvbiT0_T1_lllT2_llli.uses_flat_scratch, 0
	.set _ZL18rocblas_her_kernelILi1024EPKdPKPK19rocblas_complex_numIdEPKPS3_EvbiT0_T1_lllT2_llli.has_dyn_sized_stack, 0
	.set _ZL18rocblas_her_kernelILi1024EPKdPKPK19rocblas_complex_numIdEPKPS3_EvbiT0_T1_lllT2_llli.has_recursion, 0
	.set _ZL18rocblas_her_kernelILi1024EPKdPKPK19rocblas_complex_numIdEPKPS3_EvbiT0_T1_lllT2_llli.has_indirect_call, 0
	.section	.AMDGPU.csdata,"",@progbits
; Kernel info:
; codeLenInByte = 908
; TotalNumSgprs: 32
; NumVgprs: 28
; NumAgprs: 0
; TotalNumVgprs: 28
; ScratchSize: 0
; MemoryBound: 0
; FloatMode: 240
; IeeeMode: 1
; LDSByteSize: 0 bytes/workgroup (compile time only)
; SGPRBlocks: 3
; VGPRBlocks: 3
; NumSGPRsForWavesPerEU: 32
; NumVGPRsForWavesPerEU: 28
; AccumOffset: 28
; Occupancy: 8
; WaveLimiterHint : 1
; COMPUTE_PGM_RSRC2:SCRATCH_EN: 0
; COMPUTE_PGM_RSRC2:USER_SGPR: 2
; COMPUTE_PGM_RSRC2:TRAP_HANDLER: 0
; COMPUTE_PGM_RSRC2:TGID_X_EN: 1
; COMPUTE_PGM_RSRC2:TGID_Y_EN: 0
; COMPUTE_PGM_RSRC2:TGID_Z_EN: 1
; COMPUTE_PGM_RSRC2:TIDIG_COMP_CNT: 0
; COMPUTE_PGM_RSRC3_GFX90A:ACCUM_OFFSET: 6
; COMPUTE_PGM_RSRC3_GFX90A:TG_SPLIT: 0
	.section	.text._ZL18rocblas_her_kernelILi1024EdPKPK19rocblas_complex_numIdEPKPS1_EvbiT0_T1_lllT2_llli,"axG",@progbits,_ZL18rocblas_her_kernelILi1024EdPKPK19rocblas_complex_numIdEPKPS1_EvbiT0_T1_lllT2_llli,comdat
	.globl	_ZL18rocblas_her_kernelILi1024EdPKPK19rocblas_complex_numIdEPKPS1_EvbiT0_T1_lllT2_llli ; -- Begin function _ZL18rocblas_her_kernelILi1024EdPKPK19rocblas_complex_numIdEPKPS1_EvbiT0_T1_lllT2_llli
	.p2align	8
	.type	_ZL18rocblas_her_kernelILi1024EdPKPK19rocblas_complex_numIdEPKPS1_EvbiT0_T1_lllT2_llli,@function
_ZL18rocblas_her_kernelILi1024EdPKPK19rocblas_complex_numIdEPKPS1_EvbiT0_T1_lllT2_llli: ; @_ZL18rocblas_her_kernelILi1024EdPKPK19rocblas_complex_numIdEPKPS1_EvbiT0_T1_lllT2_llli
; %bb.0:
	s_load_dwordx8 s[4:11], s[0:1], 0x8
	s_waitcnt lgkmcnt(0)
	v_cmp_eq_f64_e64 s[12:13], s[4:5], 0
	s_and_b64 vcc, exec, s[12:13]
	s_cbranch_vccnz .LBB7_15
; %bb.1:
	s_load_dwordx2 s[16:17], s[0:1], 0x0
	s_load_dwordx4 s[12:15], s[0:1], 0x30
	s_load_dwordx2 s[20:21], s[0:1], 0x40
	s_mov_b32 s18, s3
	s_mov_b32 s19, 0
	s_lshl_b64 s[0:1], s[18:19], 3
	s_waitcnt lgkmcnt(0)
	s_and_b32 s16, s16, 1
	s_add_u32 s12, s12, s0
	s_addc_u32 s13, s13, s1
	s_load_dwordx2 s[12:13], s[12:13], 0x0
	s_lshl_b64 s[18:19], s[20:21], 4
	s_mul_hi_u32 s23, s14, s2
	s_mul_hi_u32 s22, s10, s2
	s_mul_i32 s15, s15, s2
	s_waitcnt lgkmcnt(0)
	s_add_u32 s20, s12, s18
	s_addc_u32 s21, s13, s19
	s_add_u32 s0, s6, s0
	s_addc_u32 s1, s7, s1
	s_load_dwordx2 s[0:1], s[0:1], 0x0
	s_lshl_b64 s[6:7], s[8:9], 4
	v_cmp_gt_i32_e32 vcc, s17, v0
	v_mov_b32_e32 v13, 0
	s_waitcnt lgkmcnt(0)
	s_add_u32 s8, s0, s6
	s_addc_u32 s9, s1, s7
	s_ashr_i32 s3, s2, 31
	s_mul_i32 s24, s14, s3
	s_mul_i32 s25, s10, s3
	s_add_i32 s23, s23, s24
	s_add_i32 s22, s22, s25
	;; [unrolled: 1-line block ×3, first 2 shown]
	s_mul_i32 s23, s11, s2
	s_add_i32 s23, s22, s23
	s_mul_i32 s22, s10, s2
	s_lshl_b64 s[22:23], s[22:23], 4
	s_add_u32 s22, s8, s22
	s_addc_u32 s23, s9, s23
	v_mov_b64_e32 v[2:3], s[22:23]
	flat_load_dwordx4 v[2:5], v[2:3]
	v_cndmask_b32_e32 v1, 0, v0, vcc
	v_lshlrev_b32_e32 v12, 4, v1
	s_mul_i32 s14, s14, s2
	v_lshl_add_u64 v[6:7], s[20:21], 0, v[12:13]
	v_lshl_add_u64 v[6:7], s[14:15], 4, v[6:7]
	s_cmp_eq_u32 s16, 0
	s_waitcnt vmcnt(0) lgkmcnt(0)
	v_mul_f64 v[8:9], v[4:5], 0
	v_mul_f64 v[10:11], s[4:5], v[4:5]
	v_fmac_f64_e32 v[8:9], s[4:5], v[2:3]
	v_fma_f64 v[10:11], v[2:3], 0, -v[10:11]
	s_mov_b64 s[4:5], -1
	s_cbranch_scc0 .LBB7_8
; %bb.2:
	v_cmp_eq_u32_e32 vcc, 0, v0
	s_and_saveexec_b64 s[4:5], vcc
	s_cbranch_execz .LBB7_4
; %bb.3:
	v_lshl_add_u64 v[18:19], s[2:3], 4, v[6:7]
	flat_load_dwordx2 v[14:15], v[18:19]
	v_mul_f64 v[20:21], v[4:5], v[10:11]
	v_mov_b32_e32 v16, 0
	v_fma_f64 v[20:21], v[2:3], v[8:9], -v[20:21]
	v_mov_b32_e32 v17, v16
	s_waitcnt vmcnt(0) lgkmcnt(0)
	v_add_f64 v[14:15], v[20:21], v[14:15]
	flat_store_dwordx4 v[18:19], v[14:17]
.LBB7_4:
	s_or_b64 exec, exec, s[4:5]
	s_add_i32 s20, s2, 1
	v_add_u32_e32 v1, s20, v0
	v_cmp_gt_i32_e32 vcc, s17, v1
	s_and_saveexec_b64 s[4:5], vcc
	s_cbranch_execz .LBB7_7
; %bb.5:
	s_lshl_b64 s[14:15], s[14:15], 4
	s_add_u32 s3, s14, s18
	s_addc_u32 s16, s15, s19
	s_ashr_i32 s21, s20, 31
	s_lshl_b64 s[14:15], s[20:21], 4
	s_add_u32 s3, s3, s14
	s_addc_u32 s14, s16, s15
	s_add_u32 s12, s12, s3
	v_mov_b32_e32 v13, 0
	s_addc_u32 s13, s13, s14
	v_lshl_add_u64 v[12:13], s[12:13], 0, v[12:13]
	s_mov_b64 s[12:13], 0
	s_mov_b64 s[14:15], 0x4000
.LBB7_6:                                ; =>This Inner Loop Header: Depth=1
	v_ashrrev_i32_e32 v16, 31, v1
	v_mul_lo_u32 v17, s11, v1
	v_mad_u64_u32 v[14:15], s[18:19], s10, v1, 0
	v_mul_lo_u32 v16, s10, v16
	v_add3_u32 v15, v15, v16, v17
	v_lshl_add_u64 v[22:23], v[14:15], 4, s[8:9]
	flat_load_dwordx4 v[14:17], v[22:23]
	flat_load_dwordx4 v[18:21], v[12:13]
	v_add_u32_e32 v1, 0x400, v1
	v_cmp_le_i32_e32 vcc, s17, v1
	s_or_b64 s[12:13], vcc, s[12:13]
	s_waitcnt vmcnt(0) lgkmcnt(0)
	v_mul_f64 v[22:23], v[10:11], v[16:17]
	v_mul_f64 v[16:17], v[8:9], v[16:17]
	v_fma_f64 v[22:23], v[8:9], v[14:15], -v[22:23]
	v_fmac_f64_e32 v[16:17], v[10:11], v[14:15]
	v_add_f64 v[14:15], v[18:19], v[22:23]
	v_add_f64 v[16:17], v[16:17], v[20:21]
	flat_store_dwordx4 v[12:13], v[14:17]
	v_lshl_add_u64 v[12:13], v[12:13], 0, s[14:15]
	s_andn2_b64 exec, exec, s[12:13]
	s_cbranch_execnz .LBB7_6
.LBB7_7:
	s_or_b64 exec, exec, s[4:5]
	s_mov_b64 s[4:5], 0
.LBB7_8:
	s_and_b64 vcc, exec, s[4:5]
	s_cbranch_vccz .LBB7_15
; %bb.9:
	v_cmp_gt_i32_e32 vcc, s2, v0
	v_mov_b64_e32 v[16:17], 0
	v_mov_b32_e32 v1, v0
	s_and_saveexec_b64 s[4:5], vcc
	s_cbranch_execz .LBB7_13
; %bb.10:
	v_mad_u64_u32 v[12:13], s[8:9], s10, v0, 0
	v_mov_b32_e32 v14, v13
	v_mad_u64_u32 v[14:15], s[8:9], s11, v0, v[14:15]
	s_add_u32 s0, s0, s6
	v_mov_b32_e32 v13, v14
	s_addc_u32 s1, s1, s7
	v_lshl_add_u64 v[12:13], v[12:13], 4, s[0:1]
	s_lshl_b64 s[0:1], s[10:11], 14
	s_mov_b32 s3, 0
	s_mov_b64 s[6:7], 0
	s_mov_b64 s[8:9], 0x4000
	v_mov_b64_e32 v[14:15], v[6:7]
.LBB7_11:                               ; =>This Inner Loop Header: Depth=1
	flat_load_dwordx4 v[18:21], v[12:13]
	flat_load_dwordx4 v[22:25], v[14:15]
	s_addk_i32 s3, 0x400
	v_add_u32_e32 v1, s3, v0
	v_cmp_le_i32_e32 vcc, s2, v1
	v_lshl_add_u64 v[12:13], v[12:13], 0, s[0:1]
	v_mov_b32_e32 v16, s3
	s_or_b64 s[6:7], vcc, s[6:7]
	s_waitcnt vmcnt(0) lgkmcnt(0)
	v_mul_f64 v[26:27], v[10:11], v[20:21]
	v_mul_f64 v[20:21], v[8:9], v[20:21]
	v_fma_f64 v[26:27], v[8:9], v[18:19], -v[26:27]
	v_fmac_f64_e32 v[20:21], v[10:11], v[18:19]
	v_add_f64 v[18:19], v[22:23], v[26:27]
	v_add_f64 v[20:21], v[20:21], v[24:25]
	flat_store_dwordx4 v[14:15], v[18:21]
	v_lshl_add_u64 v[14:15], v[14:15], 0, s[8:9]
	s_andn2_b64 exec, exec, s[6:7]
	s_cbranch_execnz .LBB7_11
; %bb.12:
	s_or_b64 exec, exec, s[6:7]
	v_mov_b32_e32 v17, 0
.LBB7_13:
	s_or_b64 exec, exec, s[4:5]
	v_cmp_eq_u32_e32 vcc, s2, v1
	s_and_saveexec_b64 s[0:1], vcc
	s_cbranch_execz .LBB7_15
; %bb.14:
	v_lshl_add_u64 v[0:1], v[16:17], 4, v[6:7]
	flat_load_dwordx2 v[6:7], v[0:1]
	v_mul_f64 v[10:11], v[4:5], v[10:11]
	v_mov_b32_e32 v4, 0
	v_fma_f64 v[2:3], v[2:3], v[8:9], -v[10:11]
	v_mov_b32_e32 v5, v4
	s_waitcnt vmcnt(0) lgkmcnt(0)
	v_add_f64 v[2:3], v[2:3], v[6:7]
	flat_store_dwordx4 v[0:1], v[2:5]
.LBB7_15:
	s_endpgm
	.section	.rodata,"a",@progbits
	.p2align	6, 0x0
	.amdhsa_kernel _ZL18rocblas_her_kernelILi1024EdPKPK19rocblas_complex_numIdEPKPS1_EvbiT0_T1_lllT2_llli
		.amdhsa_group_segment_fixed_size 0
		.amdhsa_private_segment_fixed_size 0
		.amdhsa_kernarg_size 84
		.amdhsa_user_sgpr_count 2
		.amdhsa_user_sgpr_dispatch_ptr 0
		.amdhsa_user_sgpr_queue_ptr 0
		.amdhsa_user_sgpr_kernarg_segment_ptr 1
		.amdhsa_user_sgpr_dispatch_id 0
		.amdhsa_user_sgpr_kernarg_preload_length 0
		.amdhsa_user_sgpr_kernarg_preload_offset 0
		.amdhsa_user_sgpr_private_segment_size 0
		.amdhsa_uses_dynamic_stack 0
		.amdhsa_enable_private_segment 0
		.amdhsa_system_sgpr_workgroup_id_x 1
		.amdhsa_system_sgpr_workgroup_id_y 0
		.amdhsa_system_sgpr_workgroup_id_z 1
		.amdhsa_system_sgpr_workgroup_info 0
		.amdhsa_system_vgpr_workitem_id 0
		.amdhsa_next_free_vgpr 28
		.amdhsa_next_free_sgpr 26
		.amdhsa_accum_offset 28
		.amdhsa_reserve_vcc 1
		.amdhsa_float_round_mode_32 0
		.amdhsa_float_round_mode_16_64 0
		.amdhsa_float_denorm_mode_32 3
		.amdhsa_float_denorm_mode_16_64 3
		.amdhsa_dx10_clamp 1
		.amdhsa_ieee_mode 1
		.amdhsa_fp16_overflow 0
		.amdhsa_tg_split 0
		.amdhsa_exception_fp_ieee_invalid_op 0
		.amdhsa_exception_fp_denorm_src 0
		.amdhsa_exception_fp_ieee_div_zero 0
		.amdhsa_exception_fp_ieee_overflow 0
		.amdhsa_exception_fp_ieee_underflow 0
		.amdhsa_exception_fp_ieee_inexact 0
		.amdhsa_exception_int_div_zero 0
	.end_amdhsa_kernel
	.section	.text._ZL18rocblas_her_kernelILi1024EdPKPK19rocblas_complex_numIdEPKPS1_EvbiT0_T1_lllT2_llli,"axG",@progbits,_ZL18rocblas_her_kernelILi1024EdPKPK19rocblas_complex_numIdEPKPS1_EvbiT0_T1_lllT2_llli,comdat
.Lfunc_end7:
	.size	_ZL18rocblas_her_kernelILi1024EdPKPK19rocblas_complex_numIdEPKPS1_EvbiT0_T1_lllT2_llli, .Lfunc_end7-_ZL18rocblas_her_kernelILi1024EdPKPK19rocblas_complex_numIdEPKPS1_EvbiT0_T1_lllT2_llli
                                        ; -- End function
	.set _ZL18rocblas_her_kernelILi1024EdPKPK19rocblas_complex_numIdEPKPS1_EvbiT0_T1_lllT2_llli.num_vgpr, 28
	.set _ZL18rocblas_her_kernelILi1024EdPKPK19rocblas_complex_numIdEPKPS1_EvbiT0_T1_lllT2_llli.num_agpr, 0
	.set _ZL18rocblas_her_kernelILi1024EdPKPK19rocblas_complex_numIdEPKPS1_EvbiT0_T1_lllT2_llli.numbered_sgpr, 26
	.set _ZL18rocblas_her_kernelILi1024EdPKPK19rocblas_complex_numIdEPKPS1_EvbiT0_T1_lllT2_llli.num_named_barrier, 0
	.set _ZL18rocblas_her_kernelILi1024EdPKPK19rocblas_complex_numIdEPKPS1_EvbiT0_T1_lllT2_llli.private_seg_size, 0
	.set _ZL18rocblas_her_kernelILi1024EdPKPK19rocblas_complex_numIdEPKPS1_EvbiT0_T1_lllT2_llli.uses_vcc, 1
	.set _ZL18rocblas_her_kernelILi1024EdPKPK19rocblas_complex_numIdEPKPS1_EvbiT0_T1_lllT2_llli.uses_flat_scratch, 0
	.set _ZL18rocblas_her_kernelILi1024EdPKPK19rocblas_complex_numIdEPKPS1_EvbiT0_T1_lllT2_llli.has_dyn_sized_stack, 0
	.set _ZL18rocblas_her_kernelILi1024EdPKPK19rocblas_complex_numIdEPKPS1_EvbiT0_T1_lllT2_llli.has_recursion, 0
	.set _ZL18rocblas_her_kernelILi1024EdPKPK19rocblas_complex_numIdEPKPS1_EvbiT0_T1_lllT2_llli.has_indirect_call, 0
	.section	.AMDGPU.csdata,"",@progbits
; Kernel info:
; codeLenInByte = 896
; TotalNumSgprs: 32
; NumVgprs: 28
; NumAgprs: 0
; TotalNumVgprs: 28
; ScratchSize: 0
; MemoryBound: 0
; FloatMode: 240
; IeeeMode: 1
; LDSByteSize: 0 bytes/workgroup (compile time only)
; SGPRBlocks: 3
; VGPRBlocks: 3
; NumSGPRsForWavesPerEU: 32
; NumVGPRsForWavesPerEU: 28
; AccumOffset: 28
; Occupancy: 8
; WaveLimiterHint : 1
; COMPUTE_PGM_RSRC2:SCRATCH_EN: 0
; COMPUTE_PGM_RSRC2:USER_SGPR: 2
; COMPUTE_PGM_RSRC2:TRAP_HANDLER: 0
; COMPUTE_PGM_RSRC2:TGID_X_EN: 1
; COMPUTE_PGM_RSRC2:TGID_Y_EN: 0
; COMPUTE_PGM_RSRC2:TGID_Z_EN: 1
; COMPUTE_PGM_RSRC2:TIDIG_COMP_CNT: 0
; COMPUTE_PGM_RSRC3_GFX90A:ACCUM_OFFSET: 6
; COMPUTE_PGM_RSRC3_GFX90A:TG_SPLIT: 0
	.section	.AMDGPU.gpr_maximums,"",@progbits
	.set amdgpu.max_num_vgpr, 0
	.set amdgpu.max_num_agpr, 0
	.set amdgpu.max_num_sgpr, 0
	.section	.AMDGPU.csdata,"",@progbits
	.type	__hip_cuid_2cb1e7aa65cf3f4b,@object ; @__hip_cuid_2cb1e7aa65cf3f4b
	.section	.bss,"aw",@nobits
	.globl	__hip_cuid_2cb1e7aa65cf3f4b
__hip_cuid_2cb1e7aa65cf3f4b:
	.byte	0                               ; 0x0
	.size	__hip_cuid_2cb1e7aa65cf3f4b, 1

	.ident	"AMD clang version 22.0.0git (https://github.com/RadeonOpenCompute/llvm-project roc-7.2.4 26084 f58b06dce1f9c15707c5f808fd002e18c2accf7e)"
	.section	".note.GNU-stack","",@progbits
	.addrsig
	.addrsig_sym __hip_cuid_2cb1e7aa65cf3f4b
	.amdgpu_metadata
---
amdhsa.kernels:
  - .agpr_count:     0
    .args:
      - .offset:         0
        .size:           1
        .value_kind:     by_value
      - .offset:         4
        .size:           4
        .value_kind:     by_value
      - .address_space:  global
        .offset:         8
        .size:           8
        .value_kind:     global_buffer
      - .address_space:  global
        .offset:         16
        .size:           8
        .value_kind:     global_buffer
      - .offset:         24
        .size:           8
        .value_kind:     by_value
      - .offset:         32
        .size:           8
        .value_kind:     by_value
      - .offset:         40
        .size:           8
        .value_kind:     by_value
      - .address_space:  global
        .offset:         48
        .size:           8
        .value_kind:     global_buffer
      - .offset:         56
        .size:           8
        .value_kind:     by_value
      - .offset:         64
        .size:           8
        .value_kind:     by_value
      - .offset:         72
        .size:           8
        .value_kind:     by_value
      - .offset:         80
        .size:           4
        .value_kind:     by_value
    .group_segment_fixed_size: 0
    .kernarg_segment_align: 8
    .kernarg_segment_size: 84
    .language:       OpenCL C
    .language_version:
      - 2
      - 0
    .max_flat_workgroup_size: 1024
    .name:           _ZL18rocblas_her_kernelILi1024EPKfPK19rocblas_complex_numIfEPS3_EvbiT0_T1_lllT2_llli
    .private_segment_fixed_size: 0
    .sgpr_count:     44
    .sgpr_spill_count: 0
    .symbol:         _ZL18rocblas_her_kernelILi1024EPKfPK19rocblas_complex_numIfEPS3_EvbiT0_T1_lllT2_llli.kd
    .uniform_work_group_size: 1
    .uses_dynamic_stack: false
    .vgpr_count:     32
    .vgpr_spill_count: 0
    .wavefront_size: 64
  - .agpr_count:     0
    .args:
      - .offset:         0
        .size:           1
        .value_kind:     by_value
      - .offset:         4
        .size:           4
        .value_kind:     by_value
      - .offset:         8
        .size:           4
        .value_kind:     by_value
      - .address_space:  global
        .offset:         16
        .size:           8
        .value_kind:     global_buffer
      - .offset:         24
        .size:           8
        .value_kind:     by_value
      - .offset:         32
        .size:           8
        .value_kind:     by_value
      - .offset:         40
        .size:           8
        .value_kind:     by_value
      - .address_space:  global
        .offset:         48
        .size:           8
        .value_kind:     global_buffer
      - .offset:         56
        .size:           8
        .value_kind:     by_value
      - .offset:         64
        .size:           8
        .value_kind:     by_value
      - .offset:         72
        .size:           8
        .value_kind:     by_value
      - .offset:         80
        .size:           4
        .value_kind:     by_value
    .group_segment_fixed_size: 0
    .kernarg_segment_align: 8
    .kernarg_segment_size: 84
    .language:       OpenCL C
    .language_version:
      - 2
      - 0
    .max_flat_workgroup_size: 1024
    .name:           _ZL18rocblas_her_kernelILi1024EfPK19rocblas_complex_numIfEPS1_EvbiT0_T1_lllT2_llli
    .private_segment_fixed_size: 0
    .sgpr_count:     44
    .sgpr_spill_count: 0
    .symbol:         _ZL18rocblas_her_kernelILi1024EfPK19rocblas_complex_numIfEPS1_EvbiT0_T1_lllT2_llli.kd
    .uniform_work_group_size: 1
    .uses_dynamic_stack: false
    .vgpr_count:     32
    .vgpr_spill_count: 0
    .wavefront_size: 64
  - .agpr_count:     0
    .args:
      - .offset:         0
        .size:           1
        .value_kind:     by_value
      - .offset:         4
        .size:           4
        .value_kind:     by_value
      - .address_space:  global
        .offset:         8
        .size:           8
        .value_kind:     global_buffer
      - .address_space:  global
        .offset:         16
        .size:           8
        .value_kind:     global_buffer
      - .offset:         24
        .size:           8
        .value_kind:     by_value
      - .offset:         32
        .size:           8
        .value_kind:     by_value
      - .offset:         40
        .size:           8
        .value_kind:     by_value
      - .address_space:  global
        .offset:         48
        .size:           8
        .value_kind:     global_buffer
      - .offset:         56
        .size:           8
        .value_kind:     by_value
      - .offset:         64
        .size:           8
        .value_kind:     by_value
      - .offset:         72
        .size:           8
        .value_kind:     by_value
      - .offset:         80
        .size:           4
        .value_kind:     by_value
    .group_segment_fixed_size: 0
    .kernarg_segment_align: 8
    .kernarg_segment_size: 84
    .language:       OpenCL C
    .language_version:
      - 2
      - 0
    .max_flat_workgroup_size: 1024
    .name:           _ZL18rocblas_her_kernelILi1024EPKdPK19rocblas_complex_numIdEPS3_EvbiT0_T1_lllT2_llli
    .private_segment_fixed_size: 0
    .sgpr_count:     42
    .sgpr_spill_count: 0
    .symbol:         _ZL18rocblas_her_kernelILi1024EPKdPK19rocblas_complex_numIdEPS3_EvbiT0_T1_lllT2_llli.kd
    .uniform_work_group_size: 1
    .uses_dynamic_stack: false
    .vgpr_count:     24
    .vgpr_spill_count: 0
    .wavefront_size: 64
  - .agpr_count:     0
    .args:
      - .offset:         0
        .size:           1
        .value_kind:     by_value
      - .offset:         4
        .size:           4
        .value_kind:     by_value
      - .offset:         8
        .size:           8
        .value_kind:     by_value
      - .address_space:  global
        .offset:         16
        .size:           8
        .value_kind:     global_buffer
      - .offset:         24
        .size:           8
        .value_kind:     by_value
      - .offset:         32
        .size:           8
        .value_kind:     by_value
      - .offset:         40
        .size:           8
        .value_kind:     by_value
      - .address_space:  global
        .offset:         48
        .size:           8
        .value_kind:     global_buffer
      - .offset:         56
        .size:           8
        .value_kind:     by_value
      - .offset:         64
        .size:           8
        .value_kind:     by_value
      - .offset:         72
        .size:           8
        .value_kind:     by_value
      - .offset:         80
        .size:           4
        .value_kind:     by_value
    .group_segment_fixed_size: 0
    .kernarg_segment_align: 8
    .kernarg_segment_size: 84
    .language:       OpenCL C
    .language_version:
      - 2
      - 0
    .max_flat_workgroup_size: 1024
    .name:           _ZL18rocblas_her_kernelILi1024EdPK19rocblas_complex_numIdEPS1_EvbiT0_T1_lllT2_llli
    .private_segment_fixed_size: 0
    .sgpr_count:     42
    .sgpr_spill_count: 0
    .symbol:         _ZL18rocblas_her_kernelILi1024EdPK19rocblas_complex_numIdEPS1_EvbiT0_T1_lllT2_llli.kd
    .uniform_work_group_size: 1
    .uses_dynamic_stack: false
    .vgpr_count:     24
    .vgpr_spill_count: 0
    .wavefront_size: 64
  - .agpr_count:     0
    .args:
      - .offset:         0
        .size:           1
        .value_kind:     by_value
      - .offset:         4
        .size:           4
        .value_kind:     by_value
      - .address_space:  global
        .offset:         8
        .size:           8
        .value_kind:     global_buffer
      - .address_space:  global
        .offset:         16
        .size:           8
        .value_kind:     global_buffer
      - .offset:         24
        .size:           8
        .value_kind:     by_value
      - .offset:         32
        .size:           8
        .value_kind:     by_value
      - .offset:         40
        .size:           8
        .value_kind:     by_value
      - .address_space:  global
        .offset:         48
        .size:           8
        .value_kind:     global_buffer
      - .offset:         56
        .size:           8
        .value_kind:     by_value
      - .offset:         64
        .size:           8
        .value_kind:     by_value
      - .offset:         72
        .size:           8
        .value_kind:     by_value
      - .offset:         80
        .size:           4
        .value_kind:     by_value
    .group_segment_fixed_size: 0
    .kernarg_segment_align: 8
    .kernarg_segment_size: 84
    .language:       OpenCL C
    .language_version:
      - 2
      - 0
    .max_flat_workgroup_size: 1024
    .name:           _ZL18rocblas_her_kernelILi1024EPKfPKPK19rocblas_complex_numIfEPKPS3_EvbiT0_T1_lllT2_llli
    .private_segment_fixed_size: 0
    .sgpr_count:     42
    .sgpr_spill_count: 0
    .symbol:         _ZL18rocblas_her_kernelILi1024EPKfPKPK19rocblas_complex_numIfEPKPS3_EvbiT0_T1_lllT2_llli.kd
    .uniform_work_group_size: 1
    .uses_dynamic_stack: false
    .vgpr_count:     32
    .vgpr_spill_count: 0
    .wavefront_size: 64
  - .agpr_count:     0
    .args:
      - .offset:         0
        .size:           1
        .value_kind:     by_value
      - .offset:         4
        .size:           4
        .value_kind:     by_value
      - .offset:         8
        .size:           4
        .value_kind:     by_value
      - .address_space:  global
        .offset:         16
        .size:           8
        .value_kind:     global_buffer
      - .offset:         24
        .size:           8
        .value_kind:     by_value
      - .offset:         32
        .size:           8
        .value_kind:     by_value
      - .offset:         40
        .size:           8
        .value_kind:     by_value
      - .address_space:  global
        .offset:         48
        .size:           8
        .value_kind:     global_buffer
      - .offset:         56
        .size:           8
        .value_kind:     by_value
      - .offset:         64
        .size:           8
        .value_kind:     by_value
      - .offset:         72
        .size:           8
        .value_kind:     by_value
      - .offset:         80
        .size:           4
        .value_kind:     by_value
    .group_segment_fixed_size: 0
    .kernarg_segment_align: 8
    .kernarg_segment_size: 84
    .language:       OpenCL C
    .language_version:
      - 2
      - 0
    .max_flat_workgroup_size: 1024
    .name:           _ZL18rocblas_her_kernelILi1024EfPKPK19rocblas_complex_numIfEPKPS1_EvbiT0_T1_lllT2_llli
    .private_segment_fixed_size: 0
    .sgpr_count:     42
    .sgpr_spill_count: 0
    .symbol:         _ZL18rocblas_her_kernelILi1024EfPKPK19rocblas_complex_numIfEPKPS1_EvbiT0_T1_lllT2_llli.kd
    .uniform_work_group_size: 1
    .uses_dynamic_stack: false
    .vgpr_count:     32
    .vgpr_spill_count: 0
    .wavefront_size: 64
  - .agpr_count:     0
    .args:
      - .offset:         0
        .size:           1
        .value_kind:     by_value
      - .offset:         4
        .size:           4
        .value_kind:     by_value
      - .address_space:  global
        .offset:         8
        .size:           8
        .value_kind:     global_buffer
      - .address_space:  global
        .offset:         16
        .size:           8
        .value_kind:     global_buffer
      - .offset:         24
        .size:           8
        .value_kind:     by_value
      - .offset:         32
        .size:           8
        .value_kind:     by_value
      - .offset:         40
        .size:           8
        .value_kind:     by_value
      - .address_space:  global
        .offset:         48
        .size:           8
        .value_kind:     global_buffer
      - .offset:         56
        .size:           8
        .value_kind:     by_value
      - .offset:         64
        .size:           8
        .value_kind:     by_value
      - .offset:         72
        .size:           8
        .value_kind:     by_value
      - .offset:         80
        .size:           4
        .value_kind:     by_value
    .group_segment_fixed_size: 0
    .kernarg_segment_align: 8
    .kernarg_segment_size: 84
    .language:       OpenCL C
    .language_version:
      - 2
      - 0
    .max_flat_workgroup_size: 1024
    .name:           _ZL18rocblas_her_kernelILi1024EPKdPKPK19rocblas_complex_numIdEPKPS3_EvbiT0_T1_lllT2_llli
    .private_segment_fixed_size: 0
    .sgpr_count:     32
    .sgpr_spill_count: 0
    .symbol:         _ZL18rocblas_her_kernelILi1024EPKdPKPK19rocblas_complex_numIdEPKPS3_EvbiT0_T1_lllT2_llli.kd
    .uniform_work_group_size: 1
    .uses_dynamic_stack: false
    .vgpr_count:     28
    .vgpr_spill_count: 0
    .wavefront_size: 64
  - .agpr_count:     0
    .args:
      - .offset:         0
        .size:           1
        .value_kind:     by_value
      - .offset:         4
        .size:           4
        .value_kind:     by_value
      - .offset:         8
        .size:           8
        .value_kind:     by_value
      - .address_space:  global
        .offset:         16
        .size:           8
        .value_kind:     global_buffer
      - .offset:         24
        .size:           8
        .value_kind:     by_value
      - .offset:         32
        .size:           8
        .value_kind:     by_value
      - .offset:         40
        .size:           8
        .value_kind:     by_value
      - .address_space:  global
        .offset:         48
        .size:           8
        .value_kind:     global_buffer
      - .offset:         56
        .size:           8
        .value_kind:     by_value
      - .offset:         64
        .size:           8
        .value_kind:     by_value
      - .offset:         72
        .size:           8
        .value_kind:     by_value
      - .offset:         80
        .size:           4
        .value_kind:     by_value
    .group_segment_fixed_size: 0
    .kernarg_segment_align: 8
    .kernarg_segment_size: 84
    .language:       OpenCL C
    .language_version:
      - 2
      - 0
    .max_flat_workgroup_size: 1024
    .name:           _ZL18rocblas_her_kernelILi1024EdPKPK19rocblas_complex_numIdEPKPS1_EvbiT0_T1_lllT2_llli
    .private_segment_fixed_size: 0
    .sgpr_count:     32
    .sgpr_spill_count: 0
    .symbol:         _ZL18rocblas_her_kernelILi1024EdPKPK19rocblas_complex_numIdEPKPS1_EvbiT0_T1_lllT2_llli.kd
    .uniform_work_group_size: 1
    .uses_dynamic_stack: false
    .vgpr_count:     28
    .vgpr_spill_count: 0
    .wavefront_size: 64
amdhsa.target:   amdgcn-amd-amdhsa--gfx950
amdhsa.version:
  - 1
  - 2
...

	.end_amdgpu_metadata
